;; amdgpu-corpus repo=ROCm/rocFFT kind=compiled arch=gfx950 opt=O3
	.text
	.amdgcn_target "amdgcn-amd-amdhsa--gfx950"
	.amdhsa_code_object_version 6
	.protected	bluestein_single_back_len4704_dim1_sp_op_CI_CI ; -- Begin function bluestein_single_back_len4704_dim1_sp_op_CI_CI
	.globl	bluestein_single_back_len4704_dim1_sp_op_CI_CI
	.p2align	8
	.type	bluestein_single_back_len4704_dim1_sp_op_CI_CI,@function
bluestein_single_back_len4704_dim1_sp_op_CI_CI: ; @bluestein_single_back_len4704_dim1_sp_op_CI_CI
; %bb.0:
	s_load_dwordx4 s[8:11], s[0:1], 0x28
	v_mul_u32_u24_e32 v1, 0x125, v0
	v_mov_b32_e32 v123, 0
	v_add_u32_sdwa v132, s2, v1 dst_sel:DWORD dst_unused:UNUSED_PAD src0_sel:DWORD src1_sel:WORD_1
	v_mov_b32_e32 v133, v123
	s_waitcnt lgkmcnt(0)
	v_cmp_gt_u64_e32 vcc, s[8:9], v[132:133]
	s_and_saveexec_b64 s[2:3], vcc
	s_cbranch_execz .LBB0_23
; %bb.1:
	s_load_dwordx4 s[4:7], s[0:1], 0x18
	s_load_dwordx2 s[14:15], s[0:1], 0x0
	v_mov_b32_e32 v2, s10
	v_mov_b32_e32 v3, s11
	s_movk_i32 s2, 0xe0
	s_waitcnt lgkmcnt(0)
	s_load_dwordx4 s[8:11], s[4:5], 0x0
	v_mul_lo_u16_sdwa v1, v1, s2 dst_sel:DWORD dst_unused:UNUSED_PAD src0_sel:WORD_1 src1_sel:DWORD
	v_sub_u16_e32 v122, v0, v1
	v_lshlrev_b32_e32 v104, 3, v122
	v_mov_b32_e32 v105, v123
	s_waitcnt lgkmcnt(0)
	v_mad_u64_u32 v[0:1], s[2:3], s10, v132, 0
	v_mov_b32_e32 v4, v1
	v_mad_u64_u32 v[4:5], s[2:3], s11, v132, v[4:5]
	v_mov_b32_e32 v1, v4
	v_mad_u64_u32 v[4:5], s[2:3], s8, v122, 0
	v_mov_b32_e32 v6, v5
	v_mad_u64_u32 v[6:7], s[2:3], s9, v122, v[6:7]
	s_mul_i32 s2, s9, 0x24c
	s_mul_hi_u32 s3, s8, 0x24c
	v_mov_b32_e32 v5, v6
	v_lshl_add_u64 v[0:1], v[0:1], 3, v[2:3]
	v_lshl_add_u64 v[102:103], s[14:15], 0, v[104:105]
	s_add_i32 s3, s3, s2
	s_mul_i32 s2, s8, 0x24c
	s_movk_i32 s4, 0x1000
	v_lshl_add_u64 v[0:1], v[4:5], 3, v[0:1]
	global_load_dwordx2 v[140:141], v104, s[14:15]
	s_lshl_b64 s[2:3], s[2:3], 3
	v_add_co_u32_e32 v10, vcc, s4, v102
	v_lshl_add_u64 v[2:3], v[0:1], 0, s[2:3]
	global_load_dwordx2 v[14:15], v[0:1], off
	global_load_dwordx2 v[16:17], v[2:3], off
	v_addc_co_u32_e32 v11, vcc, 0, v103, vcc
	s_movk_i32 s4, 0x2000
	global_load_dwordx2 v[138:139], v[10:11], off offset:608
	v_add_co_u32_e32 v4, vcc, s4, v102
	v_lshl_add_u64 v[0:1], v[2:3], 0, s[2:3]
	s_nop 0
	v_addc_co_u32_e32 v5, vcc, 0, v103, vcc
	s_movk_i32 s4, 0x3000
	global_load_dwordx2 v[18:19], v[0:1], off
	global_load_dwordx2 v[136:137], v[4:5], off offset:1216
	v_add_co_u32_e32 v2, vcc, s4, v102
	v_lshl_add_u64 v[0:1], v[0:1], 0, s[2:3]
	s_nop 0
	v_addc_co_u32_e32 v3, vcc, 0, v103, vcc
	global_load_dwordx2 v[134:135], v[2:3], off offset:1824
	s_movk_i32 s4, 0x4000
	global_load_dwordx2 v[20:21], v[0:1], off
	v_add_co_u32_e32 v8, vcc, s4, v102
	v_lshl_add_u64 v[0:1], v[0:1], 0, s[2:3]
	s_nop 0
	v_addc_co_u32_e32 v9, vcc, 0, v103, vcc
	s_movk_i32 s4, 0x5000
	global_load_dwordx2 v[22:23], v[0:1], off
	global_load_dwordx2 v[130:131], v[8:9], off offset:2432
	v_lshl_add_u64 v[6:7], v[0:1], 0, s[2:3]
	v_add_co_u32_e32 v0, vcc, s4, v102
	s_movk_i32 s4, 0x6000
	s_nop 0
	v_addc_co_u32_e32 v1, vcc, 0, v103, vcc
	global_load_dwordx2 v[24:25], v[6:7], off
	global_load_dwordx2 v[128:129], v[0:1], off offset:3040
	v_lshl_add_u64 v[12:13], v[6:7], 0, s[2:3]
	v_add_co_u32_e32 v6, vcc, s4, v102
	s_mov_b32 s4, 0x8000
	s_nop 0
	v_addc_co_u32_e32 v7, vcc, 0, v103, vcc
	global_load_dwordx2 v[126:127], v[6:7], off offset:3648
	global_load_dwordx2 v[26:27], v[12:13], off
	v_add_co_u32_e32 v30, vcc, s4, v102
	s_mul_hi_u32 s5, s8, 0xfffff0cc
	v_lshl_add_u64 v[12:13], v[12:13], 0, s[2:3]
	v_addc_co_u32_e32 v31, vcc, 0, v103, vcc
	s_mul_i32 s4, s9, 0xfffff0cc
	s_sub_i32 s5, s5, s8
	global_load_dwordx2 v[28:29], v[12:13], off
	global_load_dwordx2 v[120:121], v[30:31], off offset:160
	s_add_i32 s5, s5, s4
	s_mul_i32 s4, s8, 0xfffff0cc
	v_lshl_add_u64 v[12:13], s[4:5], 3, v[12:13]
	global_load_dwordx2 v[32:33], v[12:13], off
	global_load_dwordx2 v[124:125], v104, s[14:15] offset:1792
	v_lshl_add_u64 v[12:13], v[12:13], 0, s[2:3]
	global_load_dwordx2 v[34:35], v[12:13], off
	global_load_dwordx2 v[118:119], v[10:11], off offset:2400
	v_lshl_add_u64 v[10:11], v[12:13], 0, s[2:3]
	global_load_dwordx2 v[36:37], v[10:11], off
	global_load_dwordx2 v[116:117], v[4:5], off offset:3008
	;; [unrolled: 3-line block ×4, first 2 shown]
	v_lshl_add_u64 v[10:11], v[10:11], 0, s[2:3]
	s_movk_i32 s8, 0x7000
	global_load_dwordx2 v[42:43], v[10:11], off
	global_load_dwordx2 v[108:109], v[6:7], off offset:736
	v_lshl_add_u64 v[12:13], v[10:11], 0, s[2:3]
	v_add_co_u32_e32 v10, vcc, s8, v102
	global_load_dwordx2 v[44:45], v[12:13], off
	s_nop 0
	v_addc_co_u32_e32 v11, vcc, 0, v103, vcc
	global_load_dwordx2 v[110:111], v[10:11], off offset:1344
	v_lshl_add_u64 v[12:13], v[12:13], 0, s[2:3]
	global_load_dwordx2 v[46:47], v[12:13], off
	global_load_dwordx2 v[106:107], v[30:31], off offset:1952
	s_waitcnt vmcnt(30)
	v_mul_f32_e32 v30, v15, v141
	v_fmac_f32_e32 v30, v14, v140
	v_mul_f32_e32 v14, v14, v141
	v_fma_f32 v31, v15, v140, -v14
	s_load_dwordx2 s[12:13], s[0:1], 0x38
	s_load_dwordx4 s[8:11], s[6:7], 0x0
	s_waitcnt vmcnt(28)
	v_mul_f32_e32 v14, v17, v139
	v_mul_f32_e32 v15, v16, v139
	v_fmac_f32_e32 v14, v16, v138
	v_fma_f32 v15, v17, v138, -v15
	ds_write_b64 v104, v[14:15] offset:4704
	s_movk_i32 s6, 0x8c
	v_cmp_gt_u16_e64 s[6:7], s6, v122
	s_waitcnt vmcnt(26)
	v_mul_f32_e32 v14, v19, v137
	v_mul_f32_e32 v15, v18, v137
	v_fmac_f32_e32 v14, v18, v136
	v_fma_f32 v15, v19, v136, -v15
	ds_write_b64 v104, v[14:15] offset:9408
	s_waitcnt vmcnt(24)
	v_mul_f32_e32 v14, v21, v135
	v_mul_f32_e32 v15, v20, v135
	v_fmac_f32_e32 v14, v20, v134
	v_fma_f32 v15, v21, v134, -v15
	ds_write_b64 v104, v[14:15] offset:14112
	;; [unrolled: 6-line block ×6, first 2 shown]
	s_waitcnt vmcnt(14)
	v_mul_f32_e32 v14, v33, v125
	v_mul_f32_e32 v15, v32, v125
	v_fmac_f32_e32 v14, v32, v124
	v_fma_f32 v15, v33, v124, -v15
	ds_write2_b64 v104, v[30:31], v[14:15] offset1:224
	s_waitcnt vmcnt(12)
	v_mul_f32_e32 v14, v35, v119
	v_mul_f32_e32 v15, v34, v119
	v_fmac_f32_e32 v14, v34, v118
	v_fma_f32 v15, v35, v118, -v15
	ds_write_b64 v104, v[14:15] offset:6496
	s_waitcnt vmcnt(10)
	v_mul_f32_e32 v14, v37, v117
	v_mul_f32_e32 v15, v36, v117
	v_fmac_f32_e32 v14, v36, v116
	v_fma_f32 v15, v37, v116, -v15
	ds_write_b64 v104, v[14:15] offset:11200
	;; [unrolled: 6-line block ×7, first 2 shown]
	s_and_saveexec_b64 s[16:17], s[6:7]
	s_cbranch_execz .LBB0_3
; %bb.2:
	v_lshl_add_u64 v[12:13], s[4:5], 3, v[12:13]
	global_load_dwordx2 v[14:15], v[12:13], off
	global_load_dwordx2 v[16:17], v[102:103], off offset:3584
	v_lshl_add_u64 v[12:13], v[12:13], 0, s[2:3]
	global_load_dwordx2 v[18:19], v[12:13], off
	global_load_dwordx2 v[20:21], v[4:5], off offset:96
	;; [unrolled: 3-line block ×3, first 2 shown]
	global_load_dwordx2 v[24:25], v[8:9], off offset:1312
	v_lshl_add_u64 v[2:3], v[4:5], 0, s[2:3]
	global_load_dwordx2 v[4:5], v[2:3], off
	v_lshl_add_u64 v[2:3], v[2:3], 0, s[2:3]
	global_load_dwordx2 v[8:9], v[2:3], off
	global_load_dwordx2 v[26:27], v[0:1], off offset:1920
	global_load_dwordx2 v[28:29], v[6:7], off offset:2528
	;; [unrolled: 1-line block ×3, first 2 shown]
	v_lshl_add_u64 v[0:1], v[2:3], 0, s[2:3]
	global_load_dwordx2 v[2:3], v[0:1], off
	v_add_co_u32_e32 v6, vcc, 0x8000, v102
	v_lshl_add_u64 v[0:1], v[0:1], 0, s[2:3]
	global_load_dwordx2 v[10:11], v[0:1], off
	v_addc_co_u32_e32 v7, vcc, 0, v103, vcc
	v_lshl_add_u64 v[0:1], v[0:1], 0, s[2:3]
	global_load_dwordx2 v[6:7], v[6:7], off offset:3744
	s_waitcnt vmcnt(13)
	v_mul_f32_e32 v32, v15, v17
	global_load_dwordx2 v[0:1], v[0:1], off
	v_mul_f32_e32 v17, v14, v17
	v_fmac_f32_e32 v32, v14, v16
	v_fma_f32 v33, v15, v16, -v17
	s_waitcnt vmcnt(10)
	v_mul_f32_e32 v16, v13, v23
	v_mul_f32_e32 v17, v12, v23
	v_fmac_f32_e32 v16, v12, v22
	v_fma_f32 v17, v13, v22, -v17
	s_waitcnt vmcnt(8)
	v_mul_f32_e32 v12, v5, v25
	;; [unrolled: 5-line block ×4, first 2 shown]
	v_mul_f32_e32 v9, v2, v29
	v_mul_f32_e32 v14, v19, v21
	;; [unrolled: 1-line block ×3, first 2 shown]
	ds_write_b64 v104, v[4:5] offset:22400
	v_fmac_f32_e32 v8, v2, v28
	v_fma_f32 v9, v3, v28, -v9
	s_waitcnt vmcnt(2)
	v_mul_f32_e32 v2, v11, v31
	v_mul_f32_e32 v3, v10, v31
	v_fmac_f32_e32 v14, v18, v20
	v_fma_f32 v15, v19, v20, -v15
	v_fmac_f32_e32 v2, v10, v30
	v_fma_f32 v3, v11, v30, -v3
	ds_write_b64 v104, v[32:33] offset:3584
	ds_write_b64 v104, v[14:15] offset:8288
	;; [unrolled: 1-line block ×6, first 2 shown]
	s_waitcnt vmcnt(0)
	v_mul_f32_e32 v4, v1, v7
	v_mul_f32_e32 v5, v0, v7
	v_fmac_f32_e32 v4, v0, v6
	v_fma_f32 v5, v1, v6, -v5
	ds_write_b64 v104, v[4:5] offset:36512
.LBB0_3:
	s_or_b64 exec, exec, s[16:17]
	v_add_u32_e32 v0, 0x1200, v104
	s_waitcnt lgkmcnt(0)
	s_barrier
	ds_read2_b64 v[6:9], v0 offset0:12 offset1:236
	v_add_u32_e32 v0, 0x2400, v104
	ds_read2_b64 v[10:13], v0 offset0:24 offset1:248
	v_add_u32_e32 v0, 0x3700, v104
	;; [unrolled: 2-line block ×6, first 2 shown]
	ds_read2_b64 v[2:5], v104 offset1:224
	ds_read2_b64 v[30:33], v0 offset0:20 offset1:244
                                        ; implicit-def: $vgpr34
                                        ; implicit-def: $vgpr40
                                        ; implicit-def: $vgpr0
                                        ; implicit-def: $vgpr42
                                        ; implicit-def: $vgpr36
                                        ; implicit-def: $vgpr44
                                        ; implicit-def: $vgpr38
                                        ; implicit-def: $vgpr46
	s_and_saveexec_b64 s[2:3], s[6:7]
	s_cbranch_execz .LBB0_5
; %bb.4:
	ds_read_b64 v[36:37], v104 offset:8288
	ds_read_b64 v[0:1], v104 offset:12992
	;; [unrolled: 1-line block ×8, first 2 shown]
.LBB0_5:
	s_or_b64 exec, exec, s[2:3]
	s_waitcnt lgkmcnt(1)
	v_pk_add_f32 v[60:61], v[4:5], v[20:21] neg_lo:[0,1] neg_hi:[0,1]
	v_pk_add_f32 v[64:65], v[8:9], v[24:25] neg_lo:[0,1] neg_hi:[0,1]
	;; [unrolled: 1-line block ×5, first 2 shown]
	s_waitcnt lgkmcnt(0)
	v_pk_add_f32 v[54:55], v[14:15], v[30:31] neg_lo:[0,1] neg_hi:[0,1]
	v_pk_add_f32 v[18:19], v[20:21], v[24:25] op_sel:[0,1] op_sel_hi:[1,0] neg_lo:[0,1] neg_hi:[0,1]
	v_pk_add_f32 v[30:31], v[20:21], v[24:25] op_sel:[0,1] op_sel_hi:[1,0]
	v_pk_add_f32 v[50:51], v[10:11], v[26:27] neg_lo:[0,1] neg_hi:[0,1]
	v_pk_add_f32 v[62:63], v[12:13], v[28:29] neg_lo:[0,1] neg_hi:[0,1]
	;; [unrolled: 1-line block ×5, first 2 shown]
	v_mov_b32_e32 v19, v31
	v_pk_fma_f32 v[32:33], v[34:35], 2.0, v[20:21] op_sel_hi:[1,0,1] neg_lo:[0,0,1] neg_hi:[0,0,1]
	v_pk_fma_f32 v[0:1], v[0:1], 2.0, v[24:25] op_sel_hi:[1,0,1] neg_lo:[0,0,1] neg_hi:[0,0,1]
	v_pk_add_f32 v[52:53], v[6:7], v[22:23] neg_lo:[0,1] neg_hi:[0,1]
	v_pk_fma_f32 v[22:23], v[20:21], 2.0, v[18:19] op_sel_hi:[1,0,1] neg_lo:[0,0,1] neg_hi:[0,0,1]
	v_pk_fma_f32 v[34:35], v[36:37], 2.0, v[26:27] op_sel_hi:[1,0,1] neg_lo:[0,0,1] neg_hi:[0,0,1]
	;; [unrolled: 1-line block ×3, first 2 shown]
	v_pk_add_f32 v[20:21], v[32:33], v[0:1] neg_lo:[0,1] neg_hi:[0,1]
	s_mov_b64 s[2:3], 0xe0
	v_pk_fma_f32 v[24:25], v[32:33], 2.0, v[20:21] op_sel_hi:[1,0,1] neg_lo:[0,0,1] neg_hi:[0,0,1]
	v_pk_add_f32 v[32:33], v[34:35], v[36:37] neg_lo:[0,1] neg_hi:[0,1]
	v_lshl_add_u64 v[58:59], v[122:123], 0, s[2:3]
	v_pk_fma_f32 v[0:1], v[34:35], 2.0, v[32:33] op_sel_hi:[1,0,1] neg_lo:[0,0,1] neg_hi:[0,0,1]
	v_sub_f32_e32 v35, v26, v29
	v_mov_b32_e32 v34, v27
	v_pk_add_f32 v[28:29], v[28:29], v[34:35]
	s_mov_b64 s[2:3], 0x1c0
	v_fma_f32 v27, v27, 2.0, -v28
	v_lshl_add_u64 v[56:57], v[122:123], 0, s[2:3]
	v_fma_f32 v26, v26, 2.0, -v35
	s_mov_b32 s2, 0x3f3504f3
	v_mul_f32_e32 v29, 0x3f3504f3, v27
	v_mov_b32_e32 v27, v28
	v_pk_fma_f32 v[36:37], v[26:27], s[2:3], v[22:23] op_sel_hi:[1,0,1] neg_lo:[1,0,0] neg_hi:[1,0,0]
	v_mov_b32_e32 v38, v20
	v_mov_b32_e32 v39, v36
	;; [unrolled: 1-line block ×3, first 2 shown]
	v_mul_f32_e32 v35, 0x3f3504f3, v35
	v_pk_add_f32 v[40:41], v[38:39], v[28:29] neg_lo:[0,1] neg_hi:[0,1]
	v_mov_b32_e32 v34, v23
	v_mov_b32_e32 v28, v29
	;; [unrolled: 1-line block ×4, first 2 shown]
	v_pk_add_f32 v[28:29], v[34:35], v[28:29] neg_lo:[0,1] neg_hi:[0,1]
	v_pk_add_f32 v[36:37], v[34:35], v[36:37]
	v_pk_fma_f32 v[30:31], v[26:27], s[2:3], v[30:31] op_sel_hi:[1,0,1]
	v_pk_fma_f32 v[42:43], v[26:27], s[2:3], v[28:29] op_sel_hi:[1,0,1]
	v_pk_fma_f32 v[26:27], v[26:27], s[2:3], v[36:37] op_sel_hi:[1,0,1] neg_lo:[1,0,0] neg_hi:[1,0,0]
	v_pk_fma_f32 v[2:3], v[2:3], 2.0, v[48:49] op_sel_hi:[1,0,1] neg_lo:[0,0,1] neg_hi:[0,0,1]
	v_pk_fma_f32 v[10:11], v[10:11], 2.0, v[50:51] op_sel_hi:[1,0,1] neg_lo:[0,0,1] neg_hi:[0,0,1]
	;; [unrolled: 1-line block ×4, first 2 shown]
	v_mov_b32_e32 v33, v32
	v_mov_b32_e32 v43, v27
	;; [unrolled: 1-line block ×5, first 2 shown]
	v_pk_add_f32 v[10:11], v[2:3], v[10:11] neg_lo:[0,1] neg_hi:[0,1]
	v_pk_add_f32 v[14:15], v[6:7], v[14:15] neg_lo:[0,1] neg_hi:[0,1]
	v_pk_add_f32 v[44:45], v[32:33], v[26:27]
	v_lshlrev_b16_e32 v26, 3, v122
	v_pk_fma_f32 v[2:3], v[2:3], 2.0, v[10:11] op_sel_hi:[1,0,1] neg_lo:[0,0,1] neg_hi:[0,0,1]
	v_pk_fma_f32 v[6:7], v[6:7], 2.0, v[14:15] op_sel_hi:[1,0,1] neg_lo:[0,0,1] neg_hi:[0,0,1]
	v_lshlrev_b32_e32 v133, 3, v26
	v_pk_add_f32 v[26:27], v[2:3], v[6:7] neg_lo:[0,1] neg_hi:[0,1]
	v_pk_add_f32 v[6:7], v[48:49], v[50:51] op_sel:[0,1] op_sel_hi:[1,0]
	v_pk_fma_f32 v[30:31], v[2:3], 2.0, v[26:27] op_sel_hi:[1,0,1] neg_lo:[0,0,1] neg_hi:[0,0,1]
	v_pk_add_f32 v[2:3], v[48:49], v[50:51] op_sel:[0,1] op_sel_hi:[1,0] neg_lo:[0,1] neg_hi:[0,1]
	v_pk_add_f32 v[36:37], v[52:53], v[54:55] op_sel:[0,1] op_sel_hi:[1,0] neg_lo:[0,1] neg_hi:[0,1]
	v_pk_add_f32 v[28:29], v[52:53], v[54:55] op_sel:[0,1] op_sel_hi:[1,0]
	v_mov_b32_e32 v3, v7
	v_mov_b32_e32 v37, v29
	v_pk_fma_f32 v[6:7], v[48:49], 2.0, v[2:3] op_sel_hi:[1,0,1] neg_lo:[0,0,1] neg_hi:[0,0,1]
	v_pk_fma_f32 v[28:29], v[52:53], 2.0, v[36:37] op_sel_hi:[1,0,1] neg_lo:[0,0,1] neg_hi:[0,0,1]
	s_nop 0
	v_pk_mul_f32 v[32:33], v[28:29], s[2:3] op_sel_hi:[1,0]
	v_pk_fma_f32 v[34:35], v[28:29], s[2:3], v[6:7] op_sel_hi:[1,0,1] neg_lo:[1,0,0] neg_hi:[1,0,0]
	s_barrier
	v_pk_add_f32 v[28:29], v[34:35], v[32:33] op_sel:[0,1] op_sel_hi:[1,0] neg_lo:[0,1] neg_hi:[0,1]
	v_pk_add_f32 v[38:39], v[34:35], v[32:33] op_sel:[0,1] op_sel_hi:[1,0]
	s_nop 0
	v_mov_b32_e32 v29, v39
	v_pk_fma_f32 v[32:33], v[6:7], 2.0, v[28:29] op_sel_hi:[1,0,1] neg_lo:[0,0,1] neg_hi:[0,0,1]
	ds_write_b128 v133, v[30:33]
	v_pk_add_f32 v[30:31], v[10:11], v[14:15] op_sel:[0,1] op_sel_hi:[1,0] neg_lo:[0,1] neg_hi:[0,1]
	v_pk_add_f32 v[6:7], v[10:11], v[14:15] op_sel:[0,1] op_sel_hi:[1,0]
	v_pk_fma_f32 v[14:15], v[36:37], s[2:3], v[2:3] op_sel_hi:[1,0,1]
	v_mov_b32_e32 v31, v7
	v_pk_fma_f32 v[34:35], v[10:11], 2.0, v[30:31] op_sel_hi:[1,0,1] neg_lo:[0,0,1] neg_hi:[0,0,1]
	v_pk_mul_f32 v[10:11], v[36:37], s[2:3] op_sel_hi:[1,0]
	v_pk_fma_f32 v[6:7], v[8:9], 2.0, v[64:65] op_sel_hi:[1,0,1] neg_lo:[0,0,1] neg_hi:[0,0,1]
	v_pk_add_f32 v[32:33], v[14:15], v[10:11] op_sel:[0,1] op_sel_hi:[1,0] neg_lo:[0,1] neg_hi:[0,1]
	v_pk_add_f32 v[10:11], v[14:15], v[10:11] op_sel:[0,1] op_sel_hi:[1,0]
	v_pk_fma_f32 v[8:9], v[16:17], 2.0, v[66:67] op_sel_hi:[1,0,1] neg_lo:[0,0,1] neg_hi:[0,0,1]
	v_mov_b32_e32 v33, v11
	v_pk_fma_f32 v[36:37], v[2:3], 2.0, v[32:33] op_sel_hi:[1,0,1] neg_lo:[0,0,1] neg_hi:[0,0,1]
	v_pk_fma_f32 v[2:3], v[4:5], 2.0, v[60:61] op_sel_hi:[1,0,1] neg_lo:[0,0,1] neg_hi:[0,0,1]
	v_pk_fma_f32 v[4:5], v[12:13], 2.0, v[62:63] op_sel_hi:[1,0,1] neg_lo:[0,0,1] neg_hi:[0,0,1]
	v_pk_add_f32 v[12:13], v[6:7], v[8:9] neg_lo:[0,1] neg_hi:[0,1]
	v_pk_add_f32 v[10:11], v[2:3], v[4:5] neg_lo:[0,1] neg_hi:[0,1]
	v_pk_add_f32 v[14:15], v[60:61], v[62:63] op_sel:[0,1] op_sel_hi:[1,0] neg_lo:[0,1] neg_hi:[0,1]
	v_pk_fma_f32 v[4:5], v[2:3], 2.0, v[10:11] op_sel_hi:[1,0,1] neg_lo:[0,0,1] neg_hi:[0,0,1]
	v_pk_fma_f32 v[2:3], v[6:7], 2.0, v[12:13] op_sel_hi:[1,0,1] neg_lo:[0,0,1] neg_hi:[0,0,1]
	v_pk_add_f32 v[16:17], v[64:65], v[66:67] op_sel:[0,1] op_sel_hi:[1,0] neg_lo:[0,1] neg_hi:[0,1]
	v_pk_add_f32 v[2:3], v[4:5], v[2:3] neg_lo:[0,1] neg_hi:[0,1]
	ds_write_b128 v133, v[34:37] offset:16
	ds_write_b128 v133, v[26:29] offset:32
	;; [unrolled: 1-line block ×3, first 2 shown]
	v_pk_fma_f32 v[6:7], v[4:5], 2.0, v[2:3] op_sel_hi:[1,0,1] neg_lo:[0,0,1] neg_hi:[0,0,1]
	v_pk_add_f32 v[4:5], v[60:61], v[62:63] op_sel:[0,1] op_sel_hi:[1,0]
	v_lshlrev_b32_e32 v174, 6, v58
	v_mov_b32_e32 v15, v5
	v_pk_add_f32 v[4:5], v[64:65], v[66:67] op_sel:[0,1] op_sel_hi:[1,0]
	v_pk_fma_f32 v[8:9], v[60:61], 2.0, v[14:15] op_sel_hi:[1,0,1] neg_lo:[0,0,1] neg_hi:[0,0,1]
	v_mov_b32_e32 v17, v5
	v_pk_fma_f32 v[4:5], v[64:65], 2.0, v[16:17] op_sel_hi:[1,0,1] neg_lo:[0,0,1] neg_hi:[0,0,1]
	v_pk_add_f32 v[0:1], v[24:25], v[0:1] neg_lo:[0,1] neg_hi:[0,1]
	v_pk_mul_f32 v[26:27], v[4:5], s[2:3] op_sel_hi:[1,0]
	v_pk_fma_f32 v[28:29], v[4:5], s[2:3], v[8:9] op_sel_hi:[1,0,1] neg_lo:[1,0,0] neg_hi:[1,0,0]
	v_lshlrev_b32_e32 v175, 6, v56
	v_pk_add_f32 v[4:5], v[28:29], v[26:27] op_sel:[0,1] op_sel_hi:[1,0] neg_lo:[0,1] neg_hi:[0,1]
	v_pk_add_f32 v[26:27], v[28:29], v[26:27] op_sel:[0,1] op_sel_hi:[1,0]
	v_pk_add_f32 v[28:29], v[10:11], v[12:13] op_sel:[0,1] op_sel_hi:[1,0]
	v_mov_b32_e32 v5, v27
	v_pk_fma_f32 v[8:9], v[8:9], 2.0, v[4:5] op_sel_hi:[1,0,1] neg_lo:[0,0,1] neg_hi:[0,0,1]
	ds_write_b128 v174, v[6:9]
	v_pk_add_f32 v[6:7], v[10:11], v[12:13] op_sel:[0,1] op_sel_hi:[1,0] neg_lo:[0,1] neg_hi:[0,1]
	v_pk_mul_f32 v[12:13], v[16:17], s[2:3] op_sel_hi:[1,0]
	v_pk_fma_f32 v[16:17], v[16:17], s[2:3], v[14:15] op_sel_hi:[1,0,1]
	v_mov_b32_e32 v7, v29
	v_pk_add_f32 v[8:9], v[16:17], v[12:13] op_sel:[0,1] op_sel_hi:[1,0] neg_lo:[0,1] neg_hi:[0,1]
	v_pk_add_f32 v[16:17], v[16:17], v[12:13] op_sel:[0,1] op_sel_hi:[1,0]
	v_pk_fma_f32 v[10:11], v[10:11], 2.0, v[6:7] op_sel_hi:[1,0,1] neg_lo:[0,0,1] neg_hi:[0,0,1]
	v_mov_b32_e32 v9, v17
	v_pk_fma_f32 v[12:13], v[14:15], 2.0, v[8:9] op_sel_hi:[1,0,1] neg_lo:[0,0,1] neg_hi:[0,0,1]
	ds_write_b128 v174, v[10:13] offset:16
	ds_write_b128 v174, v[2:5] offset:32
	;; [unrolled: 1-line block ×3, first 2 shown]
	s_and_saveexec_b64 s[2:3], s[6:7]
	s_cbranch_execz .LBB0_7
; %bb.6:
	v_mov_b32_e32 v4, v41
	v_mov_b32_e32 v5, v42
	v_pk_fma_f32 v[2:3], v[24:25], 2.0, v[0:1] op_sel_hi:[1,0,1] neg_lo:[0,0,1] neg_hi:[0,0,1]
	v_pk_fma_f32 v[4:5], v[22:23], 2.0, v[4:5] op_sel_hi:[1,0,1] neg_lo:[0,0,1] neg_hi:[0,0,1]
	ds_write_b128 v175, v[2:5]
	v_mov_b32_e32 v2, v40
	v_mov_b32_e32 v3, v45
	v_mov_b32_e32 v4, v43
	v_mov_b32_e32 v5, v44
	v_pk_fma_f32 v[2:3], v[20:21], 2.0, v[2:3] op_sel_hi:[1,0,1] neg_lo:[0,0,1] neg_hi:[0,0,1]
	v_pk_fma_f32 v[4:5], v[18:19], 2.0, v[4:5] op_sel_hi:[1,0,1] neg_lo:[0,0,1] neg_hi:[0,0,1]
	ds_write_b128 v175, v[2:5] offset:16
	v_mov_b32_e32 v2, v41
	v_mov_b32_e32 v3, v42
	ds_write_b128 v175, v[0:3] offset:32
	v_mov_b32_e32 v2, v40
	v_mov_b32_e32 v3, v45
	;; [unrolled: 1-line block ×4, first 2 shown]
	ds_write_b128 v175, v[2:5] offset:48
.LBB0_7:
	s_or_b64 exec, exec, s[2:3]
	v_add_u32_e32 v2, 0x2400, v104
	s_waitcnt lgkmcnt(0)
	s_barrier
	ds_read2_b64 v[32:35], v2 offset0:24 offset1:248
	v_add_u32_e32 v2, 0x4900, v104
	v_add_u32_e32 v6, 0x3200, v104
	ds_read2_b64 v[28:31], v2 offset0:16 offset1:240
	v_add_u32_e32 v2, 0x6e00, v104
	ds_read2_b64 v[20:23], v6 offset0:24 offset1:248
	;; [unrolled: 2-line block ×4, first 2 shown]
	v_add_u32_e32 v6, 0x7c00, v104
	ds_read2_b64 v[24:27], v104 offset1:224
	ds_read2_b64 v[2:5], v2 offset1:224
	ds_read2_b64 v[12:15], v6 offset0:8 offset1:232
	ds_read_b64 v[50:51], v104 offset:16576
	ds_read_b64 v[48:49], v104 offset:25984
	ds_read_b64 v[6:7], v104 offset:7168
	ds_read_b64 v[46:47], v104 offset:35392
	s_load_dwordx2 s[0:1], s[0:1], 0x8
	v_cmp_gt_u16_e64 s[2:3], 56, v122
	v_cmp_lt_u16_e64 s[4:5], 55, v122
	s_and_saveexec_b64 s[16:17], s[4:5]
	s_xor_b64 s[16:17], exec, s[16:17]
	s_andn2_saveexec_b64 s[16:17], s[16:17]
	s_cbranch_execz .LBB0_9
; %bb.8:
	ds_read_b64 v[8:9], v104 offset:18368
	ds_read_b64 v[40:41], v104 offset:27776
	;; [unrolled: 1-line block ×4, first 2 shown]
	s_waitcnt lgkmcnt(0)
	v_mov_b32_e32 v42, v9
	v_mov_b32_e32 v45, v41
	;; [unrolled: 1-line block ×5, first 2 shown]
.LBB0_9:
	s_or_b64 exec, exec, s[16:17]
	v_and_b32_e32 v105, 7, v122
	s_waitcnt lgkmcnt(0)
	v_mad_u64_u32 v[52:53], s[16:17], v105, 24, s[0:1]
	global_load_dwordx4 v[8:11], v[52:53], off
	global_load_dwordx2 v[142:143], v[52:53], off offset:16
	v_lshlrev_b32_e32 v52, 2, v122
	s_movk_i32 s22, 0x3e0
	v_lshlrev_b32_e32 v53, 2, v58
	s_movk_i32 s23, 0x7e0
	s_mov_b64 s[16:17], 0x2a0
	s_mov_b64 s[18:19], 0x380
	;; [unrolled: 1-line block ×3, first 2 shown]
	v_and_or_b32 v52, v52, s22, v105
	v_and_or_b32 v53, v53, s23, v105
	v_mov_b32_e32 v61, 0
	v_lshl_add_u64 v[66:67], v[122:123], 0, s[16:17]
	v_lshl_add_u64 v[64:65], v[122:123], 0, s[18:19]
	;; [unrolled: 1-line block ×3, first 2 shown]
	v_lshlrev_b32_e32 v212, 3, v52
	v_lshlrev_b32_e32 v123, 3, v53
	s_barrier
	s_movk_i32 s16, 0xfe0
	v_lshlrev_b32_e32 v216, 2, v62
	s_waitcnt vmcnt(1)
	v_pk_mul_f32 v[52:53], v[40:41], v[8:9] op_sel:[1,0]
	v_pk_mul_f32 v[54:55], v[44:45], v[10:11] op_sel:[1,0]
	s_waitcnt vmcnt(0)
	v_pk_mul_f32 v[68:69], v[42:43], v[142:143] op_sel:[1,0]
	v_pk_mul_f32 v[70:71], v[32:33], v[8:9] op_sel:[0,1]
	v_mov_b32_e32 v60, v11
	v_pk_mul_f32 v[72:73], v[36:37], v[142:143] op_sel:[0,1]
	v_pk_mul_f32 v[76:77], v[38:39], v[142:143] op_sel:[0,1]
	v_pk_fma_f32 v[78:79], v[42:43], v[8:9], v[52:53] op_sel:[0,0,1] op_sel_hi:[1,1,0]
	v_pk_fma_f32 v[42:43], v[42:43], v[8:9], v[52:53] op_sel:[0,0,1] op_sel_hi:[0,1,0] neg_lo:[1,0,0] neg_hi:[1,0,0]
	v_pk_fma_f32 v[52:53], v[40:41], v[10:11], v[54:55] op_sel:[0,0,1] op_sel_hi:[1,1,0] neg_lo:[0,0,1] neg_hi:[0,0,1]
	v_pk_fma_f32 v[40:41], v[40:41], v[10:11], v[54:55] op_sel:[0,0,1] op_sel_hi:[0,1,0]
	v_pk_fma_f32 v[54:55], v[44:45], v[142:143], v[68:69] op_sel:[0,0,1] op_sel_hi:[1,1,0]
	v_pk_fma_f32 v[44:45], v[44:45], v[142:143], v[68:69] op_sel:[0,0,1] op_sel_hi:[0,1,0] neg_lo:[1,0,0] neg_hi:[1,0,0]
	v_pk_fma_f32 v[68:69], v[32:33], v[8:9], v[70:71] op_sel:[0,0,1] op_sel_hi:[1,1,0] neg_lo:[0,0,1] neg_hi:[0,0,1]
	v_pk_fma_f32 v[32:33], v[32:33], v[8:9], v[70:71] op_sel:[0,0,1] op_sel_hi:[1,0,0]
	v_pk_mul_f32 v[70:71], v[28:29], v[60:61] op_sel_hi:[1,0]
	v_pk_fma_f32 v[80:81], v[36:37], v[142:143], v[72:73] op_sel:[0,0,1] op_sel_hi:[1,1,0] neg_lo:[0,0,1] neg_hi:[0,0,1]
	v_pk_fma_f32 v[36:37], v[36:37], v[142:143], v[72:73] op_sel:[0,0,1] op_sel_hi:[1,0,0]
	v_pk_fma_f32 v[82:83], v[38:39], v[142:143], v[76:77] op_sel:[0,0,1] op_sel_hi:[1,1,0] neg_lo:[0,0,1] neg_hi:[0,0,1]
	v_pk_fma_f32 v[38:39], v[38:39], v[142:143], v[76:77] op_sel:[0,0,1] op_sel_hi:[1,0,0]
	v_mov_b32_e32 v79, v43
	v_mov_b32_e32 v53, v41
	v_mov_b32_e32 v55, v45
	v_mov_b32_e32 v69, v33
	v_pk_fma_f32 v[32:33], v[28:29], v[10:11], v[70:71] op_sel:[0,0,1] op_sel_hi:[1,1,0] neg_lo:[0,0,1] neg_hi:[0,0,1]
	v_pk_fma_f32 v[28:29], v[28:29], v[10:11], v[70:71] op_sel:[0,0,1] op_sel_hi:[1,0,0]
	v_pk_mul_f32 v[74:75], v[34:35], v[8:9] op_sel:[0,1]
	v_mov_b32_e32 v81, v37
	v_mov_b32_e32 v83, v39
	v_pk_add_f32 v[36:37], v[0:1], v[52:53] neg_lo:[0,1] neg_hi:[0,1]
	v_pk_add_f32 v[38:39], v[78:79], v[54:55] neg_lo:[0,1] neg_hi:[0,1]
	v_mov_b32_e32 v33, v29
	v_pk_fma_f32 v[72:73], v[34:35], v[8:9], v[74:75] op_sel:[0,0,1] op_sel_hi:[1,1,0] neg_lo:[0,0,1] neg_hi:[0,0,1]
	v_pk_fma_f32 v[34:35], v[34:35], v[8:9], v[74:75] op_sel:[0,0,1] op_sel_hi:[1,0,0]
	v_pk_mul_f32 v[74:75], v[30:31], v[60:61] op_sel_hi:[1,0]
	v_pk_add_f32 v[28:29], v[68:69], v[80:81] neg_lo:[0,1] neg_hi:[0,1]
	v_pk_fma_f32 v[40:41], v[78:79], 2.0, v[38:39] op_sel_hi:[1,0,1] neg_lo:[0,0,1] neg_hi:[0,0,1]
	v_pk_add_f32 v[152:153], v[36:37], v[38:39] neg_lo:[0,1] neg_hi:[0,1]
	v_pk_add_f32 v[38:39], v[36:37], v[38:39]
	v_pk_add_f32 v[32:33], v[24:25], v[32:33] neg_lo:[0,1] neg_hi:[0,1]
	v_mov_b32_e32 v73, v35
	v_pk_fma_f32 v[34:35], v[30:31], v[10:11], v[74:75] op_sel:[0,0,1] op_sel_hi:[1,1,0] neg_lo:[0,0,1] neg_hi:[0,0,1]
	v_pk_fma_f32 v[30:31], v[30:31], v[10:11], v[74:75] op_sel:[0,0,1] op_sel_hi:[1,0,0]
	v_pk_fma_f32 v[42:43], v[68:69], 2.0, v[28:29] op_sel_hi:[1,0,1] neg_lo:[0,0,1] neg_hi:[0,0,1]
	v_mov_b32_e32 v153, v39
	v_pk_fma_f32 v[24:25], v[24:25], 2.0, v[32:33] op_sel_hi:[1,0,1] neg_lo:[0,0,1] neg_hi:[0,0,1]
	v_pk_add_f32 v[38:39], v[32:33], v[28:29] op_sel:[0,1] op_sel_hi:[1,0] neg_lo:[0,1] neg_hi:[0,1]
	v_pk_add_f32 v[28:29], v[32:33], v[28:29] op_sel:[0,1] op_sel_hi:[1,0]
	v_mov_b32_e32 v35, v31
	v_pk_fma_f32 v[0:1], v[0:1], 2.0, v[36:37] op_sel_hi:[1,0,1] neg_lo:[0,0,1] neg_hi:[0,0,1]
	v_pk_fma_f32 v[156:157], v[36:37], 2.0, v[152:153] op_sel_hi:[1,0,1] neg_lo:[0,0,1] neg_hi:[0,0,1]
	v_pk_add_f32 v[36:37], v[24:25], v[42:43] neg_lo:[0,1] neg_hi:[0,1]
	v_mov_b32_e32 v39, v29
	v_pk_add_f32 v[30:31], v[72:73], v[82:83] neg_lo:[0,1] neg_hi:[0,1]
	v_pk_add_f32 v[34:35], v[26:27], v[34:35] neg_lo:[0,1] neg_hi:[0,1]
	v_pk_fma_f32 v[24:25], v[24:25], 2.0, v[36:37] op_sel_hi:[1,0,1] neg_lo:[0,0,1] neg_hi:[0,0,1]
	v_pk_fma_f32 v[32:33], v[32:33], 2.0, v[38:39] op_sel_hi:[1,0,1] neg_lo:[0,0,1] neg_hi:[0,0,1]
	;; [unrolled: 1-line block ×3, first 2 shown]
	v_pk_add_f32 v[154:155], v[0:1], v[40:41] op_sel:[0,1] op_sel_hi:[1,0] neg_lo:[0,1] neg_hi:[0,1]
	v_pk_fma_f32 v[26:27], v[26:27], 2.0, v[34:35] op_sel_hi:[1,0,1] neg_lo:[0,0,1] neg_hi:[0,0,1]
	v_pk_add_f32 v[40:41], v[34:35], v[30:31] op_sel:[0,1] op_sel_hi:[1,0] neg_lo:[0,1] neg_hi:[0,1]
	ds_write2_b64 v212, v[24:25], v[32:33] offset1:8
	v_pk_add_f32 v[24:25], v[34:35], v[30:31] op_sel:[0,1] op_sel_hi:[1,0]
	v_pk_add_f32 v[28:29], v[26:27], v[44:45] neg_lo:[0,1] neg_hi:[0,1]
	v_mov_b32_e32 v41, v25
	v_pk_fma_f32 v[26:27], v[26:27], 2.0, v[28:29] op_sel_hi:[1,0,1] neg_lo:[0,0,1] neg_hi:[0,0,1]
	v_pk_fma_f32 v[24:25], v[34:35], 2.0, v[40:41] op_sel_hi:[1,0,1] neg_lo:[0,0,1] neg_hi:[0,0,1]
	ds_write2_b64 v212, v[36:37], v[38:39] offset0:16 offset1:24
	ds_write2_b64 v123, v[26:27], v[24:25] offset1:8
	ds_write2_b64 v123, v[28:29], v[40:41] offset0:16 offset1:24
	v_lshlrev_b32_e32 v24, 2, v56
	v_and_or_b32 v24, v24, s16, v105
	v_lshlrev_b32_e32 v213, 3, v24
	v_pk_mul_f32 v[24:25], v[20:21], v[8:9] op_sel:[0,1]
	s_nop 0
	v_pk_fma_f32 v[26:27], v[20:21], v[8:9], v[24:25] op_sel:[0,0,1] op_sel_hi:[1,1,0] neg_lo:[0,0,1] neg_hi:[0,0,1]
	v_pk_fma_f32 v[20:21], v[20:21], v[8:9], v[24:25] op_sel:[0,0,1] op_sel_hi:[1,0,0]
	s_nop 0
	v_mov_b32_e32 v27, v21
	v_pk_mul_f32 v[20:21], v[16:17], v[60:61] op_sel_hi:[1,0]
	s_nop 0
	v_pk_fma_f32 v[24:25], v[16:17], v[10:11], v[20:21] op_sel:[0,0,1] op_sel_hi:[1,1,0] neg_lo:[0,0,1] neg_hi:[0,0,1]
	v_pk_fma_f32 v[16:17], v[16:17], v[10:11], v[20:21] op_sel:[0,0,1] op_sel_hi:[1,0,0]
	s_nop 0
	v_mov_b32_e32 v25, v17
	v_pk_mul_f32 v[16:17], v[12:13], v[142:143] op_sel:[0,1]
	s_nop 0
	v_pk_fma_f32 v[20:21], v[12:13], v[142:143], v[16:17] op_sel:[0,0,1] op_sel_hi:[1,1,0] neg_lo:[0,0,1] neg_hi:[0,0,1]
	v_pk_fma_f32 v[12:13], v[12:13], v[142:143], v[16:17] op_sel:[0,0,1] op_sel_hi:[1,0,0]
	s_nop 0
	v_mov_b32_e32 v21, v13
	v_pk_add_f32 v[12:13], v[2:3], v[24:25] neg_lo:[0,1] neg_hi:[0,1]
	v_pk_add_f32 v[16:17], v[26:27], v[20:21] neg_lo:[0,1] neg_hi:[0,1]
	v_pk_fma_f32 v[2:3], v[2:3], 2.0, v[12:13] op_sel_hi:[1,0,1] neg_lo:[0,0,1] neg_hi:[0,0,1]
	v_pk_fma_f32 v[20:21], v[26:27], 2.0, v[16:17] op_sel_hi:[1,0,1] neg_lo:[0,0,1] neg_hi:[0,0,1]
	v_pk_add_f32 v[24:25], v[12:13], v[16:17] op_sel:[0,1] op_sel_hi:[1,0] neg_lo:[0,1] neg_hi:[0,1]
	v_pk_add_f32 v[16:17], v[12:13], v[16:17] op_sel:[0,1] op_sel_hi:[1,0]
	v_pk_add_f32 v[20:21], v[2:3], v[20:21] neg_lo:[0,1] neg_hi:[0,1]
	v_mov_b32_e32 v25, v17
	v_pk_fma_f32 v[2:3], v[2:3], 2.0, v[20:21] op_sel_hi:[1,0,1] neg_lo:[0,0,1] neg_hi:[0,0,1]
	v_pk_fma_f32 v[12:13], v[12:13], 2.0, v[24:25] op_sel_hi:[1,0,1] neg_lo:[0,0,1] neg_hi:[0,0,1]
	ds_write2_b64 v213, v[2:3], v[12:13] offset1:8
	ds_write2_b64 v213, v[20:21], v[24:25] offset0:16 offset1:24
	v_lshlrev_b32_e32 v2, 2, v66
	v_and_or_b32 v2, v2, s16, v105
	v_lshlrev_b32_e32 v214, 3, v2
	v_pk_mul_f32 v[2:3], v[22:23], v[8:9] op_sel:[0,1]
	s_movk_i32 s16, 0x1fe0
	v_pk_fma_f32 v[12:13], v[22:23], v[8:9], v[2:3] op_sel:[0,0,1] op_sel_hi:[1,1,0] neg_lo:[0,0,1] neg_hi:[0,0,1]
	v_pk_fma_f32 v[2:3], v[22:23], v[8:9], v[2:3] op_sel:[0,0,1] op_sel_hi:[1,0,0]
	s_nop 0
	v_mov_b32_e32 v13, v3
	v_pk_mul_f32 v[2:3], v[18:19], v[60:61] op_sel_hi:[1,0]
	s_nop 0
	v_pk_fma_f32 v[16:17], v[18:19], v[10:11], v[2:3] op_sel:[0,0,1] op_sel_hi:[1,1,0] neg_lo:[0,0,1] neg_hi:[0,0,1]
	v_pk_fma_f32 v[2:3], v[18:19], v[10:11], v[2:3] op_sel:[0,0,1] op_sel_hi:[1,0,0]
	s_nop 0
	v_mov_b32_e32 v17, v3
	v_pk_mul_f32 v[2:3], v[14:15], v[142:143] op_sel:[0,1]
	s_nop 0
	v_pk_fma_f32 v[18:19], v[14:15], v[142:143], v[2:3] op_sel:[0,0,1] op_sel_hi:[1,1,0] neg_lo:[0,0,1] neg_hi:[0,0,1]
	v_pk_fma_f32 v[2:3], v[14:15], v[142:143], v[2:3] op_sel:[0,0,1] op_sel_hi:[1,0,0]
	s_nop 0
	v_mov_b32_e32 v19, v3
	v_pk_add_f32 v[2:3], v[4:5], v[16:17] neg_lo:[0,1] neg_hi:[0,1]
	v_pk_add_f32 v[14:15], v[12:13], v[18:19] neg_lo:[0,1] neg_hi:[0,1]
	v_pk_fma_f32 v[4:5], v[4:5], 2.0, v[2:3] op_sel_hi:[1,0,1] neg_lo:[0,0,1] neg_hi:[0,0,1]
	v_pk_fma_f32 v[12:13], v[12:13], 2.0, v[14:15] op_sel_hi:[1,0,1] neg_lo:[0,0,1] neg_hi:[0,0,1]
	v_pk_add_f32 v[16:17], v[2:3], v[14:15] op_sel:[0,1] op_sel_hi:[1,0] neg_lo:[0,1] neg_hi:[0,1]
	v_pk_add_f32 v[14:15], v[2:3], v[14:15] op_sel:[0,1] op_sel_hi:[1,0]
	v_pk_add_f32 v[12:13], v[4:5], v[12:13] neg_lo:[0,1] neg_hi:[0,1]
	v_mov_b32_e32 v17, v15
	v_pk_fma_f32 v[4:5], v[4:5], 2.0, v[12:13] op_sel_hi:[1,0,1] neg_lo:[0,0,1] neg_hi:[0,0,1]
	v_pk_fma_f32 v[2:3], v[2:3], 2.0, v[16:17] op_sel_hi:[1,0,1] neg_lo:[0,0,1] neg_hi:[0,0,1]
	ds_write2_b64 v214, v[4:5], v[2:3] offset1:8
	ds_write2_b64 v214, v[12:13], v[16:17] offset0:16 offset1:24
	v_lshlrev_b32_e32 v2, 2, v64
	v_and_or_b32 v2, v2, s16, v105
	v_lshlrev_b32_e32 v215, 3, v2
	v_pk_mul_f32 v[2:3], v[50:51], v[8:9] op_sel:[0,1]
	s_nop 0
	v_pk_fma_f32 v[4:5], v[50:51], v[8:9], v[2:3] op_sel:[0,0,1] op_sel_hi:[1,1,0] neg_lo:[0,0,1] neg_hi:[0,0,1]
	v_pk_fma_f32 v[2:3], v[50:51], v[8:9], v[2:3] op_sel:[0,0,1] op_sel_hi:[1,0,0]
	s_nop 0
	v_mov_b32_e32 v5, v3
	v_pk_mul_f32 v[2:3], v[48:49], v[60:61] op_sel_hi:[1,0]
	s_nop 0
	v_pk_fma_f32 v[12:13], v[48:49], v[10:11], v[2:3] op_sel:[0,0,1] op_sel_hi:[1,1,0] neg_lo:[0,0,1] neg_hi:[0,0,1]
	v_pk_fma_f32 v[2:3], v[48:49], v[10:11], v[2:3] op_sel:[0,0,1] op_sel_hi:[1,0,0]
	s_nop 0
	v_mov_b32_e32 v13, v3
	v_pk_mul_f32 v[2:3], v[46:47], v[142:143] op_sel:[0,1]
	s_nop 0
	v_pk_fma_f32 v[14:15], v[46:47], v[142:143], v[2:3] op_sel:[0,0,1] op_sel_hi:[1,1,0] neg_lo:[0,0,1] neg_hi:[0,0,1]
	v_pk_fma_f32 v[2:3], v[46:47], v[142:143], v[2:3] op_sel:[0,0,1] op_sel_hi:[1,0,0]
	s_nop 0
	v_mov_b32_e32 v15, v3
	v_pk_add_f32 v[2:3], v[6:7], v[12:13] neg_lo:[0,1] neg_hi:[0,1]
	v_pk_add_f32 v[12:13], v[4:5], v[14:15] neg_lo:[0,1] neg_hi:[0,1]
	v_pk_fma_f32 v[6:7], v[6:7], 2.0, v[2:3] op_sel_hi:[1,0,1] neg_lo:[0,0,1] neg_hi:[0,0,1]
	v_pk_fma_f32 v[4:5], v[4:5], 2.0, v[12:13] op_sel_hi:[1,0,1] neg_lo:[0,0,1] neg_hi:[0,0,1]
	v_pk_add_f32 v[14:15], v[2:3], v[12:13] op_sel:[0,1] op_sel_hi:[1,0] neg_lo:[0,1] neg_hi:[0,1]
	v_pk_add_f32 v[12:13], v[2:3], v[12:13] op_sel:[0,1] op_sel_hi:[1,0]
	v_pk_add_f32 v[4:5], v[6:7], v[4:5] neg_lo:[0,1] neg_hi:[0,1]
	v_mov_b32_e32 v15, v13
	v_pk_fma_f32 v[6:7], v[6:7], 2.0, v[4:5] op_sel_hi:[1,0,1] neg_lo:[0,0,1] neg_hi:[0,0,1]
	v_pk_fma_f32 v[2:3], v[2:3], 2.0, v[14:15] op_sel_hi:[1,0,1] neg_lo:[0,0,1] neg_hi:[0,0,1]
	ds_write2_b64 v215, v[6:7], v[2:3] offset1:8
	ds_write2_b64 v215, v[4:5], v[14:15] offset0:16 offset1:24
	s_and_saveexec_b64 s[16:17], s[2:3]
	s_cbranch_execz .LBB0_11
; %bb.10:
	s_movk_i32 s18, 0x13e0
	v_and_or_b32 v2, v216, s18, v105
	v_lshlrev_b32_e32 v2, 3, v2
	v_pk_fma_f32 v[0:1], v[0:1], 2.0, v[154:155] op_sel_hi:[1,0,1] neg_lo:[0,0,1] neg_hi:[0,0,1]
	ds_write2_b64 v2, v[0:1], v[156:157] offset1:8
	ds_write2_b64 v2, v[154:155], v[152:153] offset0:16 offset1:24
.LBB0_11:
	s_or_b64 exec, exec, s[16:17]
	v_and_b32_e32 v44, 31, v122
	v_mad_u64_u32 v[16:17], s[16:17], v44, 48, s[0:1]
	s_waitcnt lgkmcnt(0)
	s_barrier
	global_load_dwordx4 v[12:15], v[16:17], off offset:208
	global_load_dwordx4 v[4:7], v[16:17], off offset:192
	;; [unrolled: 1-line block ×3, first 2 shown]
	v_add_u32_e32 v63, 0x2a00, v104
	v_add_u32_e32 v57, 0x3800, v104
	;; [unrolled: 1-line block ×8, first 2 shown]
	ds_read_b64 v[54:55], v104 offset:35840
	v_add_u32_e32 v65, 0x7e00, v104
	ds_read2_b64 v[46:49], v63 offset1:224
	ds_read2_b64 v[50:53], v57 offset1:224
	;; [unrolled: 1-line block ×9, first 2 shown]
	s_waitcnt lgkmcnt(7)
	v_mov_b32_e32 v42, v51
	s_waitcnt lgkmcnt(3)
	v_mov_b32_e32 v38, v75
	v_mov_b32_e32 v39, v70
	;; [unrolled: 1-line block ×8, first 2 shown]
	s_mov_b32 s18, 0x3eae86e6
	s_mov_b32 s19, 0xbf08b237
	;; [unrolled: 1-line block ×12, first 2 shown]
	s_waitcnt vmcnt(2)
	v_mul_f32_e32 v29, v68, v13
	s_waitcnt vmcnt(1)
	v_mul_f32_e32 v28, v47, v7
	;; [unrolled: 2-line block ×3, first 2 shown]
	v_mul_f32_e32 v36, v49, v7
	v_mul_f32_e32 v40, v73, v1
	;; [unrolled: 1-line block ×6, first 2 shown]
	s_waitcnt lgkmcnt(1)
	v_pk_mul_f32 v[92:93], v[78:79], v[4:5] op_sel_hi:[1,0]
	v_mov_b32_e32 v51, v21
	v_mov_b32_e32 v94, v7
	;; [unrolled: 1-line block ×15, first 2 shown]
	s_waitcnt lgkmcnt(0)
	v_pk_mul_f32 v[100:101], v[82:83], v[2:3] op_sel_hi:[1,0]
	v_fma_f32 v84, v46, v6, -v28
	v_fma_f32 v86, v22, v0, -v30
	;; [unrolled: 1-line block ×6, first 2 shown]
	v_pk_fma_f32 v[144:145], v[78:79], v[4:5], v[92:93] op_sel:[0,1,1] op_sel_hi:[1,1,0]
	v_pk_fma_f32 v[78:79], v[78:79], v[4:5], v[92:93] op_sel:[0,1,1] op_sel_hi:[1,1,0] neg_lo:[1,0,0] neg_hi:[1,0,0]
	v_pk_mul_f32 v[50:51], v[50:51], v[94:95]
	v_pk_mul_f32 v[92:93], v[74:75], v[70:71]
	v_pk_mul_f32 v[74:75], v[80:81], v[2:3] op_sel_hi:[1,0]
	v_mov_b32_e32 v73, v69
	v_pk_mul_f32 v[48:49], v[48:49], v[94:95]
	v_pk_mul_f32 v[46:47], v[46:47], v[94:95]
	v_pk_mul_f32 v[94:95], v[18:19], v[4:5] op_sel_hi:[1,0]
	v_pk_mul_f32 v[22:23], v[22:23], v[70:71]
	v_mul_f32_e32 v85, v53, v12
	v_mul_f32_e32 v87, v52, v13
	;; [unrolled: 1-line block ×4, first 2 shown]
	v_pk_fma_f32 v[148:149], v[82:83], v[60:61], v[100:101] op_sel:[0,0,1] op_sel_hi:[1,0,0]
	v_pk_fma_f32 v[82:83], v[82:83], v[60:61], v[100:101] op_sel:[0,0,1] op_sel_hi:[1,0,0] neg_lo:[1,0,0] neg_hi:[1,0,0]
	v_pk_fma_f32 v[100:101], v[80:81], v[60:61], v[74:75] op_sel:[0,0,1] op_sel_hi:[1,0,0]
	v_pk_fma_f32 v[80:81], v[80:81], v[60:61], v[74:75] op_sel:[0,0,1] op_sel_hi:[1,0,0] neg_lo:[1,0,0] neg_hi:[1,0,0]
	v_pk_mul_f32 v[72:73], v[72:73], v[70:71]
	v_pk_fma_f32 v[52:53], v[18:19], v[4:5], v[94:95] op_sel:[0,1,1] op_sel_hi:[1,1,0]
	v_pk_fma_f32 v[18:19], v[18:19], v[4:5], v[94:95] op_sel:[0,1,1] op_sel_hi:[1,1,0] neg_lo:[1,0,0] neg_hi:[1,0,0]
	v_pk_fma_f32 v[24:25], v[158:159], v[6:7], v[46:47]
	v_pk_fma_f32 v[46:47], v[158:159], v[32:33], v[46:47] neg_lo:[0,0,1] neg_hi:[0,0,1]
	v_pk_fma_f32 v[70:71], v[160:161], v[0:1], v[22:23]
	v_pk_fma_f32 v[22:23], v[160:161], v[34:35], v[22:23] neg_lo:[0,0,1] neg_hi:[0,0,1]
	v_pk_mul_f32 v[96:97], v[54:55], v[2:3] op_sel_hi:[1,0]
	v_pk_mul_f32 v[98:99], v[76:77], v[4:5] op_sel_hi:[1,0]
	v_mov_b32_e32 v53, v19
	v_mov_b32_e32 v25, v47
	;; [unrolled: 1-line block ×6, first 2 shown]
	v_pk_fma_f32 v[146:147], v[54:55], v[60:61], v[96:97] op_sel:[0,0,1] op_sel_hi:[1,0,0]
	v_pk_fma_f32 v[54:55], v[54:55], v[60:61], v[96:97] op_sel:[0,0,1] op_sel_hi:[1,0,0] neg_lo:[1,0,0] neg_hi:[1,0,0]
	v_pk_fma_f32 v[96:97], v[76:77], v[4:5], v[98:99] op_sel:[0,1,1] op_sel_hi:[1,1,0]
	v_pk_fma_f32 v[98:99], v[76:77], v[4:5], v[98:99] op_sel:[0,1,1] op_sel_hi:[1,1,0] neg_lo:[1,0,0] neg_hi:[1,0,0]
	ds_read2_b64 v[74:77], v104 offset1:224
	v_pk_add_f32 v[94:95], v[52:53], v[100:101]
	v_pk_add_f32 v[52:53], v[52:53], v[100:101] neg_lo:[0,1] neg_hi:[0,1]
	v_pk_add_f32 v[100:101], v[24:25], v[70:71]
	v_pk_add_f32 v[24:25], v[24:25], v[70:71] neg_lo:[0,1] neg_hi:[0,1]
	v_pk_add_f32 v[70:71], v[84:85], v[86:87]
	v_pk_add_f32 v[18:19], v[88:89], v[90:91]
	v_mov_b32_e32 v81, v84
	v_mov_b32_e32 v80, v19
	;; [unrolled: 1-line block ×8, first 2 shown]
	v_pk_add_f32 v[80:81], v[80:81], v[84:85] neg_lo:[0,1] neg_hi:[0,1]
	v_pk_add_f32 v[90:91], v[70:71], v[18:19]
	v_pk_add_f32 v[22:23], v[22:23], v[46:47]
	v_mov_b32_e32 v86, v80
	v_mov_b32_e32 v87, v53
	;; [unrolled: 1-line block ×6, first 2 shown]
	v_pk_add_f32 v[86:87], v[86:87], v[24:25] neg_lo:[0,1] neg_hi:[0,1]
	v_pk_add_f32 v[46:47], v[46:47], v[70:71] neg_lo:[0,1] neg_hi:[0,1]
	v_mov_b32_e32 v19, v91
	v_pk_add_f32 v[90:91], v[90:91], v[22:23]
	v_mov_b32_e32 v23, v100
	v_pk_add_f32 v[84:85], v[84:85], v[80:81] neg_lo:[0,1] neg_hi:[0,1]
	v_pk_mul_f32 v[86:87], v[86:87], s[26:27]
	v_pk_add_f32 v[88:89], v[24:25], v[80:81]
	v_pk_add_f32 v[22:23], v[18:19], v[22:23] neg_lo:[0,1] neg_hi:[0,1]
	v_pk_mul_f32 v[46:47], v[46:47], s[22:23]
	s_waitcnt lgkmcnt(0)
	v_pk_add_f32 v[74:75], v[74:75], v[90:91]
	v_pk_add_f32 v[88:89], v[88:89], v[52:53]
	v_pk_fma_f32 v[90:91], v[90:91], s[20:21], v[74:75] op_sel_hi:[1,0,1] neg_lo:[1,0,0] neg_hi:[1,0,0]
	v_pk_fma_f32 v[158:159], v[22:23], s[24:25], v[46:47]
	v_pk_fma_f32 v[160:161], v[84:85], s[18:19], v[86:87]
	v_lshrrev_b32_e32 v19, 5, v122
	v_pk_add_f32 v[158:159], v[158:159], v[90:91]
	v_pk_fma_f32 v[160:161], v[88:89], s[16:17], v[160:161] op_sel_hi:[1,0,1]
	v_mul_u32_u24_e32 v19, 0xe0, v19
	v_pk_add_f32 v[162:163], v[158:159], v[160:161]
	v_pk_add_f32 v[158:159], v[158:159], v[160:161] neg_lo:[0,1] neg_hi:[0,1]
	v_or_b32_e32 v19, v19, v44
	v_mul_f32_e32 v31, v69, v12
	v_lshlrev_b32_e32 v218, 3, v19
	v_mov_b32_e32 v160, v162
	v_mov_b32_e32 v161, v159
	;; [unrolled: 1-line block ×4, first 2 shown]
	s_barrier
	ds_write2_b64 v218, v[74:75], v[160:161] offset1:32
	v_mul_f32_e32 v21, v21, v14
	v_mul_f32_e32 v161, v20, v15
	v_pk_fma_f32 v[164:165], v[42:43], v[6:7], v[50:51]
	v_pk_fma_f32 v[42:43], v[42:43], v[32:33], v[50:51] neg_lo:[0,0,1] neg_hi:[0,0,1]
	v_pk_fma_f32 v[50:51], v[38:39], v[0:1], v[92:93]
	v_pk_fma_f32 v[38:39], v[38:39], v[34:35], v[92:93] neg_lo:[0,0,1] neg_hi:[0,0,1]
	v_mov_b32_e32 v20, v79
	v_mov_b32_e32 v160, v55
	v_pk_fma_f32 v[32:33], v[68:69], v[32:33], v[48:49] neg_lo:[0,0,1] neg_hi:[0,0,1]
	v_pk_fma_f32 v[48:49], v[68:69], v[6:7], v[48:49]
	v_pk_fma_f32 v[34:35], v[150:151], v[34:35], v[72:73] neg_lo:[0,0,1] neg_hi:[0,0,1]
	v_pk_fma_f32 v[68:69], v[150:151], v[0:1], v[72:73]
	v_mul_f32_e32 v27, v27, v14
	v_mul_f32_e32 v75, v26, v15
	v_mov_b32_e32 v145, v79
	v_mov_b32_e32 v147, v55
	;; [unrolled: 1-line block ×4, first 2 shown]
	v_pk_add_f32 v[20:21], v[20:21], v[160:161]
	v_pk_add_f32 v[54:55], v[40:41], v[36:37]
	v_mov_b32_e32 v97, v99
	v_mov_b32_e32 v149, v83
	;; [unrolled: 1-line block ×6, first 2 shown]
	v_pk_add_f32 v[92:93], v[144:145], v[146:147]
	v_pk_add_f32 v[144:145], v[144:145], v[146:147] neg_lo:[0,1] neg_hi:[0,1]
	v_pk_add_f32 v[146:147], v[164:165], v[50:51]
	v_mov_b32_e32 v41, v40
	v_mov_b32_e32 v40, v21
	;; [unrolled: 1-line block ×4, first 2 shown]
	v_pk_add_f32 v[72:73], v[96:97], v[148:149]
	v_pk_add_f32 v[96:97], v[96:97], v[148:149] neg_lo:[0,1] neg_hi:[0,1]
	v_pk_add_f32 v[148:149], v[48:49], v[68:69]
	v_pk_add_f32 v[48:49], v[48:49], v[68:69] neg_lo:[0,1] neg_hi:[0,1]
	v_pk_add_f32 v[26:27], v[26:27], v[74:75]
	v_pk_add_f32 v[68:69], v[30:31], v[28:29]
	v_pk_add_f32 v[36:37], v[40:41], v[36:37] neg_lo:[0,1] neg_hi:[0,1]
	v_mov_b32_e32 v38, v39
	v_mov_b32_e32 v39, v146
	;; [unrolled: 1-line block ×8, first 2 shown]
	v_pk_add_f32 v[38:39], v[38:39], v[40:41]
	v_pk_add_f32 v[40:41], v[54:55], v[20:21]
	v_pk_add_f32 v[28:29], v[30:31], v[28:29] neg_lo:[0,1] neg_hi:[0,1]
	v_mov_b32_e32 v30, v35
	v_mov_b32_e32 v31, v148
	;; [unrolled: 1-line block ×4, first 2 shown]
	v_pk_add_f32 v[50:51], v[164:165], v[50:51] neg_lo:[0,1] neg_hi:[0,1]
	v_mov_b32_e32 v55, v41
	v_mov_b32_e32 v78, v36
	v_mov_b32_e32 v79, v145
	v_mov_b32_e32 v164, v38
	v_mov_b32_e32 v165, v92
	v_pk_add_f32 v[30:31], v[30:31], v[32:33]
	v_pk_add_f32 v[32:33], v[68:69], v[26:27]
	v_mov_b32_e32 v21, v41
	v_pk_add_f32 v[40:41], v[40:41], v[38:39]
	v_mov_b32_e32 v42, v144
	v_mov_b32_e32 v43, v51
	v_pk_add_f32 v[78:79], v[78:79], v[50:51] neg_lo:[0,1] neg_hi:[0,1]
	v_pk_add_f32 v[164:165], v[164:165], v[54:55] neg_lo:[0,1] neg_hi:[0,1]
	v_mov_b32_e32 v39, v146
	v_mov_b32_e32 v69, v33
	;; [unrolled: 1-line block ×3, first 2 shown]
	v_pk_add_f32 v[32:33], v[32:33], v[30:31]
	v_pk_add_f32 v[16:17], v[16:17], v[40:41]
	v_pk_add_f32 v[42:43], v[42:43], v[36:37] neg_lo:[0,1] neg_hi:[0,1]
	v_pk_mul_f32 v[78:79], v[78:79], s[26:27]
	v_pk_add_f32 v[160:161], v[50:51], v[36:37]
	v_pk_add_f32 v[38:39], v[20:21], v[38:39] neg_lo:[0,1] neg_hi:[0,1]
	v_pk_mul_f32 v[164:165], v[164:165], s[22:23]
	v_pk_add_f32 v[34:35], v[76:77], v[32:33]
	v_mov_b32_e32 v76, v28
	v_mov_b32_e32 v77, v97
	;; [unrolled: 1-line block ×3, first 2 shown]
	v_pk_add_f32 v[160:161], v[160:161], v[144:145]
	v_pk_fma_f32 v[40:41], v[40:41], s[20:21], v[16:17] op_sel_hi:[1,0,1] neg_lo:[1,0,0] neg_hi:[1,0,0]
	v_pk_fma_f32 v[170:171], v[38:39], s[24:25], v[164:165]
	v_pk_fma_f32 v[172:173], v[42:43], s[18:19], v[78:79]
	v_mov_b32_e32 v74, v96
	v_mov_b32_e32 v75, v49
	v_pk_add_f32 v[76:77], v[76:77], v[48:49] neg_lo:[0,1] neg_hi:[0,1]
	v_pk_add_f32 v[24:25], v[24:25], v[52:53] neg_lo:[0,1] neg_hi:[0,1]
	v_pk_mul_f32 v[52:53], v[84:85], s[18:19]
	v_pk_add_f32 v[170:171], v[170:171], v[40:41]
	v_pk_fma_f32 v[172:173], v[160:161], s[16:17], v[172:173] op_sel_hi:[1,0,1]
	v_pk_add_f32 v[74:75], v[74:75], v[28:29] neg_lo:[0,1] neg_hi:[0,1]
	v_pk_mul_f32 v[76:77], v[76:77], s[26:27]
	v_pk_add_f32 v[82:83], v[48:49], v[28:29]
	v_mov_b32_e32 v98, v30
	v_mov_b32_e32 v99, v72
	;; [unrolled: 1-line block ×4, first 2 shown]
	v_pk_mul_f32 v[22:23], v[22:23], s[24:25]
	v_mov_b32_e32 v80, v52
	v_mov_b32_e32 v81, v87
	v_pk_add_f32 v[178:179], v[170:171], v[172:173]
	v_pk_add_f32 v[170:171], v[170:171], v[172:173] neg_lo:[0,1] neg_hi:[0,1]
	v_pk_add_f32 v[82:83], v[82:83], v[96:97]
	v_pk_add_f32 v[98:99], v[98:99], v[68:69] neg_lo:[0,1] neg_hi:[0,1]
	v_mov_b32_e32 v31, v148
	v_pk_fma_f32 v[172:173], v[74:75], s[18:19], v[76:77]
	v_pk_add_f32 v[18:19], v[70:71], v[18:19] neg_lo:[0,1] neg_hi:[0,1]
	v_mov_b32_e32 v70, v22
	v_mov_b32_e32 v71, v47
	v_pk_fma_f32 v[80:81], v[24:25], s[28:29], v[80:81] op_sel_hi:[1,0,1] neg_lo:[1,0,1] neg_hi:[1,0,1]
	v_mov_b32_e32 v47, v23
	v_mov_b32_e32 v87, v53
	v_pk_add_f32 v[30:31], v[26:27], v[30:31] neg_lo:[0,1] neg_hi:[0,1]
	v_pk_mul_f32 v[98:99], v[98:99], s[22:23]
	v_pk_fma_f32 v[172:173], v[82:83], s[16:17], v[172:173] op_sel_hi:[1,0,1]
	v_pk_fma_f32 v[70:71], v[18:19], s[30:31], v[70:71] op_sel_hi:[1,0,1] neg_lo:[1,0,1] neg_hi:[1,0,1]
	v_pk_fma_f32 v[80:81], v[88:89], s[16:17], v[80:81] op_sel_hi:[1,0,1]
	v_pk_fma_f32 v[18:19], v[18:19], s[30:31], v[46:47] op_sel_hi:[1,0,1] neg_lo:[0,0,1] neg_hi:[0,0,1]
	s_movk_i32 s17, 0xe0
	v_pk_fma_f32 v[24:25], v[24:25], s[28:29], v[86:87] op_sel_hi:[1,0,1] neg_lo:[0,0,1] neg_hi:[0,0,1]
	v_pk_fma_f32 v[32:33], v[32:33], s[20:21], v[34:35] op_sel_hi:[1,0,1] neg_lo:[1,0,0] neg_hi:[1,0,0]
	v_pk_fma_f32 v[150:151], v[30:31], s[24:25], v[98:99]
	v_pk_add_f32 v[70:71], v[70:71], v[90:91]
	v_lshrrev_b32_e32 v21, 5, v58
	v_lshrrev_b32_e32 v22, 5, v56
	v_pk_add_f32 v[18:19], v[18:19], v[90:91]
	v_pk_fma_f32 v[24:25], v[88:89], s[16:17], v[24:25] op_sel_hi:[1,0,1]
	v_pk_add_f32 v[150:151], v[150:151], v[32:33]
	v_pk_add_f32 v[94:95], v[70:71], v[80:81]
	v_pk_add_f32 v[70:71], v[70:71], v[80:81] neg_lo:[0,1] neg_hi:[0,1]
	v_mul_u32_u24_e32 v21, 0xe0, v21
	v_mul_u32_u24_e32 v22, 0xe0, v22
	v_pk_add_f32 v[46:47], v[18:19], v[24:25] neg_lo:[0,1] neg_hi:[0,1]
	v_pk_add_f32 v[18:19], v[18:19], v[24:25]
	v_pk_add_f32 v[180:181], v[150:151], v[172:173]
	v_pk_add_f32 v[150:151], v[150:151], v[172:173] neg_lo:[0,1] neg_hi:[0,1]
	v_or_b32_e32 v21, v21, v44
	v_or_b32_e32 v22, v22, v44
	v_mov_b32_e32 v45, v71
	v_mov_b32_e32 v25, v19
	;; [unrolled: 1-line block ×4, first 2 shown]
	v_lshlrev_b32_e32 v219, 3, v21
	v_lshlrev_b32_e32 v217, 3, v22
	v_pk_mul_f32 v[22:23], v[42:43], s[18:19]
	v_pk_mul_f32 v[42:43], v[74:75], s[18:19]
	;; [unrolled: 1-line block ×3, first 2 shown]
	v_mov_b32_e32 v44, v94
	v_mov_b32_e32 v24, v46
	ds_write2_b64 v218, v[18:19], v[70:71] offset0:128 offset1:160
	v_mov_b32_e32 v159, v163
	v_mov_b32_e32 v18, v180
	;; [unrolled: 1-line block ×6, first 2 shown]
	ds_write2_b64 v218, v[44:45], v[24:25] offset0:64 offset1:96
	ds_write_b64 v218, v[158:159] offset:1536
	ds_write2_b64 v219, v[34:35], v[18:19] offset1:32
	v_pk_add_f32 v[18:19], v[48:49], v[96:97] neg_lo:[0,1] neg_hi:[0,1]
	v_pk_add_f32 v[24:25], v[68:69], v[26:27] neg_lo:[0,1] neg_hi:[0,1]
	v_mov_b32_e32 v26, v30
	v_mov_b32_e32 v27, v99
	;; [unrolled: 1-line block ×6, first 2 shown]
	v_pk_fma_f32 v[26:27], v[24:25], s[30:31], v[26:27] op_sel_hi:[1,0,1] neg_lo:[1,0,1] neg_hi:[1,0,1]
	v_pk_fma_f32 v[28:29], v[18:19], s[28:29], v[28:29] op_sel_hi:[1,0,1] neg_lo:[1,0,1] neg_hi:[1,0,1]
	;; [unrolled: 1-line block ×4, first 2 shown]
	v_pk_add_f32 v[26:27], v[26:27], v[32:33]
	v_pk_fma_f32 v[28:29], v[82:83], s[16:17], v[28:29] op_sel_hi:[1,0,1]
	v_pk_add_f32 v[24:25], v[24:25], v[32:33]
	v_pk_fma_f32 v[18:19], v[82:83], s[16:17], v[18:19] op_sel_hi:[1,0,1]
	v_pk_add_f32 v[34:35], v[26:27], v[28:29]
	v_pk_add_f32 v[26:27], v[26:27], v[28:29] neg_lo:[0,1] neg_hi:[0,1]
	v_pk_add_f32 v[30:31], v[24:25], v[18:19] neg_lo:[0,1] neg_hi:[0,1]
	v_pk_add_f32 v[18:19], v[24:25], v[18:19]
	v_mov_b32_e32 v29, v27
	v_mov_b32_e32 v25, v19
	;; [unrolled: 1-line block ×4, first 2 shown]
	v_pk_mul_f32 v[38:39], v[38:39], s[24:25]
	v_mov_b32_e32 v28, v34
	v_mov_b32_e32 v24, v30
	ds_write2_b64 v219, v[18:19], v[26:27] offset0:128 offset1:160
	v_mov_b32_e32 v151, v181
	v_mov_b32_e32 v18, v178
	;; [unrolled: 1-line block ×6, first 2 shown]
	ds_write2_b64 v219, v[28:29], v[24:25] offset0:64 offset1:96
	ds_write_b64 v219, v[150:151] offset:1536
	ds_write2_b64 v217, v[16:17], v[18:19] offset1:32
	v_pk_add_f32 v[16:17], v[50:51], v[144:145] neg_lo:[0,1] neg_hi:[0,1]
	v_pk_add_f32 v[18:19], v[54:55], v[20:21] neg_lo:[0,1] neg_hi:[0,1]
	v_mov_b32_e32 v20, v38
	v_mov_b32_e32 v21, v165
	;; [unrolled: 1-line block ×6, first 2 shown]
	v_pk_fma_f32 v[20:21], v[18:19], s[30:31], v[20:21] op_sel_hi:[1,0,1] neg_lo:[1,0,1] neg_hi:[1,0,1]
	v_pk_fma_f32 v[24:25], v[16:17], s[28:29], v[24:25] op_sel_hi:[1,0,1] neg_lo:[1,0,1] neg_hi:[1,0,1]
	;; [unrolled: 1-line block ×4, first 2 shown]
	v_pk_add_f32 v[20:21], v[20:21], v[40:41]
	v_pk_fma_f32 v[24:25], v[160:161], s[16:17], v[24:25] op_sel_hi:[1,0,1]
	v_pk_add_f32 v[18:19], v[18:19], v[40:41]
	v_pk_fma_f32 v[16:17], v[160:161], s[16:17], v[16:17] op_sel_hi:[1,0,1]
	v_pk_add_f32 v[26:27], v[20:21], v[24:25]
	v_pk_add_f32 v[20:21], v[20:21], v[24:25] neg_lo:[0,1] neg_hi:[0,1]
	v_pk_add_f32 v[22:23], v[18:19], v[16:17] neg_lo:[0,1] neg_hi:[0,1]
	v_pk_add_f32 v[16:17], v[18:19], v[16:17]
	v_mov_b32_e32 v25, v21
	v_mov_b32_e32 v19, v17
	;; [unrolled: 1-line block ×4, first 2 shown]
	ds_write2_b64 v217, v[16:17], v[20:21] offset0:128 offset1:160
	v_lshrrev_b16_e32 v16, 5, v56
	v_lshlrev_b32_e32 v60, 3, v122
	v_mul_u32_u24_e32 v16, 0x2493, v16
	v_lshl_add_u64 v[84:85], s[14:15], 0, v[60:61]
	v_mov_b32_e32 v24, v26
	v_mov_b32_e32 v18, v22
	;; [unrolled: 1-line block ×3, first 2 shown]
	v_mad_u64_u32 v[68:69], s[14:15], v122, 48, s[0:1]
	v_mul_lo_u16_sdwa v16, v16, s17 dst_sel:DWORD dst_unused:UNUSED_PAD src0_sel:WORD_1 src1_sel:DWORD
	ds_write2_b64 v217, v[24:25], v[18:19] offset0:64 offset1:96
	ds_write_b64 v217, v[170:171] offset:1536
	s_waitcnt lgkmcnt(0)
	s_barrier
	global_load_dwordx4 v[28:31], v[68:69], off offset:1760
	global_load_dwordx4 v[32:35], v[68:69], off offset:1744
	v_sub_u16_e32 v67, v56, v16
	v_mul_lo_u16_e32 v60, 48, v67
	v_lshl_add_u64 v[40:41], s[0:1], 0, v[60:61]
	global_load_dwordx4 v[16:19], v[40:41], off offset:1744
	global_load_dwordx4 v[36:39], v[68:69], off offset:1728
	;; [unrolled: 1-line block ×4, first 2 shown]
	ds_read2_b64 v[94:97], v176 offset1:224
	ds_read2_b64 v[48:51], v63 offset1:224
	;; [unrolled: 1-line block ×8, first 2 shown]
	s_waitcnt lgkmcnt(5)
	v_mov_b32_e32 v171, v53
	s_waitcnt lgkmcnt(3)
	v_mov_b32_e32 v91, v78
	v_mov_b32_e32 v173, v52
	v_mov_b32_e32 v90, v75
	v_mov_b32_e32 v170, v94
	v_mov_b32_e32 v172, v95
	s_mov_b32 s14, s23
	v_lshlrev_b32_e32 v60, 4, v58
	s_waitcnt vmcnt(5)
	v_mov_b32_e32 v87, v29
	s_waitcnt vmcnt(4)
	v_mov_b32_e32 v82, v33
	;; [unrolled: 2-line block ×3, first 2 shown]
	v_mov_b32_e32 v16, v35
	v_pk_mul_f32 v[80:81], v[76:77], v[16:17] op_sel_hi:[1,0]
	v_mov_b32_e32 v16, v31
	v_pk_fma_f32 v[92:93], v[76:77], v[34:35], v[80:81] op_sel:[0,0,1] op_sel_hi:[1,1,0] neg_lo:[0,0,1] neg_hi:[0,0,1]
	v_pk_fma_f32 v[98:99], v[76:77], v[34:35], v[80:81] op_sel:[0,0,1] op_sel_hi:[1,0,0]
	v_pk_mul_f32 v[76:77], v[72:73], v[16:17] op_sel_hi:[1,0]
	v_mov_b32_e32 v80, v53
	v_mov_b32_e32 v81, v50
	s_waitcnt vmcnt(2)
	v_mov_b32_e32 v83, v39
	v_pk_fma_f32 v[158:159], v[72:73], v[30:31], v[76:77] op_sel:[0,0,1] op_sel_hi:[1,1,0] neg_lo:[0,0,1] neg_hi:[0,0,1]
	v_pk_fma_f32 v[160:161], v[72:73], v[30:31], v[76:77] op_sel:[0,0,1] op_sel_hi:[1,0,0]
	v_mov_b32_e32 v72, v52
	v_mov_b32_e32 v73, v51
	v_mov_b32_e32 v76, v32
	v_mov_b32_e32 v77, v38
	v_pk_mul_f32 v[100:101], v[80:81], v[82:83]
	v_mov_b32_e32 v86, v35
	v_pk_fma_f32 v[72:73], v[72:73], v[76:77], v[100:101]
	v_mov_b32_e32 v76, v79
	s_waitcnt lgkmcnt(2)
	v_mov_b32_e32 v77, v40
	v_pk_fma_f32 v[178:179], v[52:53], v[32:33], v[100:101] neg_lo:[0,0,1] neg_hi:[0,0,1]
	ds_read_b64 v[100:101], v104 offset:35840
	v_mov_b32_e32 v80, v78
	v_mov_b32_e32 v81, v41
	v_mov_b32_e32 v82, v34
	v_mov_b32_e32 v83, v28
	v_pk_mul_f32 v[86:87], v[76:77], v[86:87]
	v_mul_f32_e32 v70, v74, v31
	v_pk_fma_f32 v[76:77], v[78:79], v[34:35], v[86:87] neg_lo:[0,0,1] neg_hi:[0,0,1]
	v_pk_fma_f32 v[80:81], v[80:81], v[82:83], v[86:87]
	v_mov_b32_e32 v87, v79
	v_mov_b32_e32 v78, v55
	s_waitcnt lgkmcnt(2)
	v_mov_b32_e32 v79, v44
	v_mov_b32_e32 v148, v17
	s_waitcnt vmcnt(1)
	v_mov_b32_e32 v149, v27
	s_waitcnt lgkmcnt(1)
	v_pk_mul_f32 v[52:53], v[164:165], v[28:29] op_sel:[0,1]
	v_fmac_f32_e32 v70, v75, v30
	v_mov_b32_e32 v86, v74
	v_mov_b32_e32 v74, v54
	v_mov_b32_e32 v75, v45
	v_mov_b32_e32 v82, v145
	v_mov_b32_e32 v83, v26
	v_pk_mul_f32 v[88:89], v[78:79], v[148:149]
	v_mul_f32_e32 v72, v96, v25
	v_mov_b32_e32 v150, v19
	s_waitcnt vmcnt(0)
	v_mov_b32_e32 v151, v20
	v_pk_fma_f32 v[180:181], v[164:165], v[28:29], v[52:53] op_sel:[0,0,1] op_sel_hi:[1,1,0] neg_lo:[0,0,1] neg_hi:[0,0,1]
	v_pk_fma_f32 v[182:183], v[164:165], v[28:29], v[52:53] op_sel:[0,0,1] op_sel_hi:[1,0,0]
	v_mov_b32_e32 v52, v163
	v_mov_b32_e32 v53, v43
	v_pk_fma_f32 v[78:79], v[74:75], v[82:83], v[88:89]
	v_pk_fma_f32 v[74:75], v[54:55], v[82:83], v[88:89] neg_lo:[0,0,1] neg_hi:[0,0,1]
	v_mul_f32_e32 v98, v94, v37
	v_fmac_f32_e32 v72, v97, v24
	v_mov_b32_e32 v82, v96
	v_mov_b32_e32 v88, v97
	v_pk_mul_f32 v[96:97], v[52:53], v[150:151]
	v_fmac_f32_e32 v98, v95, v36
	v_mov_b32_e32 v83, v55
	v_mov_b32_e32 v89, v54
	;; [unrolled: 1-line block ×3, first 2 shown]
	v_pk_fma_f32 v[94:95], v[162:163], v[18:19], v[96:97] neg_lo:[0,0,1] neg_hi:[0,0,1]
	v_mov_b32_e32 v53, v162
	s_waitcnt lgkmcnt(0)
	v_mov_b32_e32 v162, v101
	v_mov_b32_e32 v54, v23
	;; [unrolled: 1-line block ×3, first 2 shown]
	v_pk_mul_f32 v[54:55], v[162:163], v[54:55]
	v_mov_b32_e32 v52, v100
	v_mov_b32_e32 v162, v22
	;; [unrolled: 1-line block ×3, first 2 shown]
	v_pk_fma_f32 v[164:165], v[52:53], v[162:163], v[54:55] neg_lo:[0,0,1] neg_hi:[0,0,1]
	v_pk_fma_f32 v[162:163], v[52:53], v[162:163], v[54:55]
	ds_read2_b64 v[52:55], v177 offset1:224
	v_pk_mul_f32 v[184:185], v[46:47], v[32:33] op_sel:[0,1]
	v_mov_b32_e32 v16, v39
	v_pk_fma_f32 v[186:187], v[46:47], v[32:33], v[184:185] op_sel:[0,0,1] op_sel_hi:[1,1,0] neg_lo:[0,0,1] neg_hi:[0,0,1]
	v_pk_fma_f32 v[46:47], v[46:47], v[32:33], v[184:185] op_sel:[0,0,1] op_sel_hi:[1,0,0]
	v_mov_b32_e32 v181, v183
	v_mov_b32_e32 v187, v47
	s_waitcnt lgkmcnt(0)
	v_pk_mul_f32 v[46:47], v[54:55], v[36:37] op_sel:[0,1]
	v_mov_b32_e32 v159, v161
	v_pk_fma_f32 v[184:185], v[54:55], v[36:37], v[46:47] op_sel:[0,0,1] op_sel_hi:[1,1,0] neg_lo:[0,0,1] neg_hi:[0,0,1]
	v_pk_fma_f32 v[46:47], v[54:55], v[36:37], v[46:47] op_sel:[0,0,1] op_sel_hi:[1,0,0]
	v_mov_b32_e32 v93, v99
	v_mov_b32_e32 v185, v47
	v_pk_mul_f32 v[46:47], v[48:49], v[16:17] op_sel_hi:[1,0]
	v_pk_add_f32 v[160:161], v[184:185], v[158:159]
	v_pk_fma_f32 v[54:55], v[48:49], v[38:39], v[46:47] op_sel:[0,0,1] op_sel_hi:[1,1,0] neg_lo:[0,0,1] neg_hi:[0,0,1]
	v_pk_fma_f32 v[46:47], v[48:49], v[38:39], v[46:47] op_sel:[0,0,1] op_sel_hi:[1,0,0]
	v_pk_add_f32 v[158:159], v[184:185], v[158:159] neg_lo:[0,1] neg_hi:[0,1]
	v_mov_b32_e32 v55, v47
	v_pk_add_f32 v[182:183], v[54:55], v[180:181]
	v_pk_add_f32 v[54:55], v[54:55], v[180:181] neg_lo:[0,1] neg_hi:[0,1]
	v_pk_add_f32 v[180:181], v[186:187], v[92:93]
	v_pk_add_f32 v[46:47], v[182:183], v[160:161]
	v_mov_b32_e32 v49, v181
	v_mov_b32_e32 v48, v46
	;; [unrolled: 1-line block ×3, first 2 shown]
	v_pk_add_f32 v[184:185], v[48:49], v[46:47]
	ds_read2_b64 v[46:49], v104 offset1:224
	v_pk_add_f32 v[92:93], v[92:93], v[186:187] neg_lo:[0,1] neg_hi:[0,1]
	v_pk_add_f32 v[188:189], v[160:161], v[180:181] neg_lo:[0,1] neg_hi:[0,1]
	v_pk_add_f32 v[190:191], v[158:159], v[92:93] op_sel:[1,1] op_sel_hi:[0,0] neg_lo:[0,1] neg_hi:[0,1]
	v_pk_add_f32 v[186:187], v[92:93], v[54:55] op_sel:[1,1] op_sel_hi:[0,0]
	v_pk_mul_f32 v[188:189], v[188:189], s[14:15] op_sel_hi:[1,0]
	s_waitcnt lgkmcnt(0)
	v_pk_add_f32 v[46:47], v[46:47], v[184:185]
	v_pk_add_f32 v[180:181], v[180:181], v[182:183] neg_lo:[0,1] neg_hi:[0,1]
	v_pk_add_f32 v[92:93], v[92:93], v[54:55] op_sel:[1,1] op_sel_hi:[0,0] neg_lo:[0,1] neg_hi:[0,1]
	s_mov_b32 s14, s19
	v_pk_mul_f32 v[192:193], v[190:191], s[18:19] op_sel_hi:[1,0]
	v_pk_add_f32 v[186:187], v[186:187], v[158:159] op_sel:[0,1] op_sel_hi:[1,0]
	v_pk_fma_f32 v[184:185], v[184:185], s[20:21], v[46:47] op_sel_hi:[1,0,1] neg_lo:[1,0,0] neg_hi:[1,0,0]
	v_pk_fma_f32 v[192:193], v[92:93], s[14:15], v[192:193] op_sel_hi:[1,0,1]
	v_pk_fma_f32 v[194:195], v[180:181], s[22:23], v[188:189] op_sel_hi:[1,0,1]
	;; [unrolled: 1-line block ×3, first 2 shown]
	v_pk_add_f32 v[194:195], v[194:195], v[184:185]
	s_nop 0
	v_pk_add_f32 v[196:197], v[194:195], v[192:193] neg_lo:[0,1] neg_hi:[0,1]
	v_pk_add_f32 v[192:193], v[194:195], v[192:193]
	v_mov_b32_e32 v195, v197
	v_mov_b32_e32 v194, v192
	s_barrier
	ds_write2_b64 v104, v[46:47], v[194:195] offset1:224
	v_pk_add_f32 v[46:47], v[182:183], v[160:161] neg_lo:[0,1] neg_hi:[0,1]
	v_pk_add_f32 v[54:55], v[54:55], v[158:159] op_sel:[1,1] op_sel_hi:[0,0] neg_lo:[0,1] neg_hi:[0,1]
	v_pk_mul_f32 v[54:55], v[54:55], s[28:29] op_sel_hi:[1,0]
	v_pk_fma_f32 v[158:159], v[46:47], s[30:31], v[188:189] op_sel_hi:[1,0,1] neg_lo:[1,0,1] neg_hi:[1,0,1]
	v_pk_mul_f32 v[46:47], v[46:47], s[30:31] op_sel_hi:[1,0]
	v_pk_fma_f32 v[160:161], v[190:191], s[18:19], v[54:55] op_sel_hi:[1,0,1] neg_lo:[1,0,1] neg_hi:[1,0,1]
	v_pk_fma_f32 v[46:47], v[180:181], s[22:23], v[46:47] op_sel_hi:[1,0,1] neg_lo:[1,0,0] neg_hi:[1,0,0]
	;; [unrolled: 1-line block ×3, first 2 shown]
	v_pk_add_f32 v[158:159], v[158:159], v[184:185]
	v_pk_fma_f32 v[160:161], v[186:187], s[16:17], v[160:161] op_sel_hi:[1,0,1]
	v_pk_add_f32 v[46:47], v[46:47], v[184:185]
	v_pk_fma_f32 v[54:55], v[186:187], s[16:17], v[54:55] op_sel_hi:[1,0,1]
	v_pk_add_f32 v[182:183], v[158:159], v[160:161]
	v_pk_add_f32 v[158:159], v[158:159], v[160:161] neg_lo:[0,1] neg_hi:[0,1]
	v_pk_add_f32 v[92:93], v[46:47], v[54:55] neg_lo:[0,1] neg_hi:[0,1]
	v_pk_add_f32 v[46:47], v[46:47], v[54:55]
	v_mov_b32_e32 v147, v32
	v_mov_b32_e32 v55, v159
	;; [unrolled: 1-line block ×6, first 2 shown]
	v_mul_f32_e32 v16, v51, v39
	v_mov_b32_e32 v32, v37
	v_mov_b32_e32 v92, v31
	;; [unrolled: 1-line block ×4, first 2 shown]
	ds_write2_b64 v176, v[46:47], v[158:159] offset1:224
	v_fma_f32 v47, v50, v38, -v16
	v_mov_b32_e32 v146, v36
	v_pk_mul_f32 v[50:51], v[172:173], v[32:33]
	v_pk_mul_f32 v[90:91], v[90:91], v[92:93]
	v_mov_b32_e32 v158, v30
	v_mov_b32_e32 v159, v34
	ds_write2_b64 v177, v[54:55], v[160:161] offset1:224
	v_pk_fma_f32 v[54:55], v[170:171], v[146:147], v[50:51] neg_lo:[0,0,1] neg_hi:[0,0,1]
	v_pk_fma_f32 v[92:93], v[86:87], v[158:159], v[90:91] neg_lo:[0,0,1] neg_hi:[0,0,1]
	v_pk_fma_f32 v[50:51], v[170:171], v[146:147], v[50:51]
	v_pk_fma_f32 v[86:87], v[86:87], v[158:159], v[90:91]
	v_mov_b32_e32 v99, v54
	v_mov_b32_e32 v71, v92
	v_mul_f32_e32 v16, v41, v29
	v_add_f32_e32 v91, v98, v70
	v_pk_add_f32 v[70:71], v[98:99], v[70:71] neg_lo:[0,1] neg_hi:[0,1]
	v_mov_b32_e32 v46, v73
	v_mov_b32_e32 v98, v81
	v_fma_f32 v99, v40, v28, -v16
	v_mov_b32_e32 v55, v51
	v_mov_b32_e32 v93, v87
	;; [unrolled: 1-line block ×6, first 2 shown]
	v_add_f32_e32 v40, v47, v99
	v_pk_add_f32 v[46:47], v[46:47], v[98:99] neg_lo:[0,1] neg_hi:[0,1]
	v_pk_add_f32 v[50:51], v[86:87], v[50:51] neg_lo:[0,1] neg_hi:[0,1]
	v_mov_b32_e32 v179, v73
	v_mov_b32_e32 v77, v81
	v_pk_add_f32 v[54:55], v[54:55], v[92:93]
	v_mov_b32_e32 v86, v50
	v_mov_b32_e32 v87, v71
	;; [unrolled: 1-line block ×4, first 2 shown]
	v_pk_add_f32 v[76:77], v[178:179], v[76:77]
	v_pk_add_f32 v[86:87], v[86:87], v[92:93] neg_lo:[0,1] neg_hi:[0,1]
	v_mov_b32_e32 v92, v70
	v_pk_add_f32 v[98:99], v[50:51], v[46:47]
	v_mov_b32_e32 v51, v47
	v_pk_add_f32 v[50:51], v[92:93], v[50:51] neg_lo:[0,1] neg_hi:[0,1]
	v_add_f32_e32 v92, v40, v54
	v_mov_b32_e32 v93, v55
	v_add_f32_e32 v161, v77, v91
	v_mov_b32_e32 v160, v76
	v_pk_add_f32 v[92:93], v[92:93], v[160:161]
	v_mov_b32_e32 v197, v193
	v_pk_add_f32 v[48:49], v[48:49], v[92:93]
	v_mov_b32_e32 v90, v76
	v_mov_b32_e32 v41, v55
	ds_write2_b64 v63, v[196:197], v[48:49] offset1:224
	v_pk_fma_f32 v[48:49], v[92:93], s[20:21], v[48:49] op_sel_hi:[1,0,1] neg_lo:[1,0,0] neg_hi:[1,0,0]
	v_pk_add_f32 v[92:93], v[98:99], v[70:71]
	v_pk_add_f32 v[98:99], v[90:91], v[40:41] neg_lo:[0,1] neg_hi:[0,1]
	v_pk_mul_f32 v[86:87], v[86:87], s[26:27]
	v_pk_add_f32 v[160:161], v[54:55], v[76:77] neg_lo:[0,1] neg_hi:[0,1]
	v_mov_b32_e32 v41, v77
	v_mov_b32_e32 v55, v91
	v_pk_mul_f32 v[98:99], v[98:99], s[22:23]
	v_pk_fma_f32 v[172:173], v[50:51], s[18:19], v[86:87]
	v_pk_add_f32 v[40:41], v[40:41], v[54:55] neg_lo:[0,1] neg_hi:[0,1]
	v_pk_mul_f32 v[54:55], v[160:161], s[24:25]
	v_pk_mul_f32 v[50:51], v[50:51], s[18:19]
	v_pk_add_f32 v[46:47], v[46:47], v[70:71] neg_lo:[0,1] neg_hi:[0,1]
	v_mov_b32_e32 v70, v54
	v_mov_b32_e32 v71, v99
	;; [unrolled: 1-line block ×4, first 2 shown]
	v_pk_fma_f32 v[170:171], v[160:161], s[24:25], v[98:99]
	v_pk_fma_f32 v[70:71], v[40:41], s[30:31], v[70:71] op_sel_hi:[1,0,1] neg_lo:[1,0,1] neg_hi:[1,0,1]
	v_pk_fma_f32 v[76:77], v[46:47], s[28:29], v[76:77] op_sel_hi:[1,0,1] neg_lo:[1,0,1] neg_hi:[1,0,1]
	v_pk_add_f32 v[170:171], v[170:171], v[48:49]
	v_pk_fma_f32 v[172:173], v[92:93], s[16:17], v[172:173] op_sel_hi:[1,0,1]
	v_pk_add_f32 v[70:71], v[70:71], v[48:49]
	v_pk_fma_f32 v[76:77], v[92:93], s[16:17], v[76:77] op_sel_hi:[1,0,1]
	v_mul_f32_e32 v16, v45, v27
	v_pk_add_f32 v[178:179], v[170:171], v[172:173]
	v_pk_add_f32 v[170:171], v[170:171], v[172:173] neg_lo:[0,1] neg_hi:[0,1]
	v_pk_add_f32 v[90:91], v[70:71], v[76:77] neg_lo:[0,1] neg_hi:[0,1]
	v_pk_add_f32 v[70:71], v[70:71], v[76:77]
	v_fma_f32 v45, v44, v26, -v16
	v_mul_f32_e32 v16, v43, v21
	v_mov_b32_e32 v76, v178
	v_mov_b32_e32 v77, v171
	v_mov_b32_e32 v160, v70
	v_mov_b32_e32 v161, v91
	v_fma_f32 v43, v42, v20, -v16
	v_mov_b32_e32 v16, v25
	ds_write2_b64 v57, v[76:77], v[160:161] offset1:224
	v_mov_b32_e32 v81, v42
	v_mul_f32_e32 v76, v100, v23
	v_mov_b32_e32 v144, v24
	v_pk_mul_f32 v[88:89], v[88:89], v[16:17]
	v_mov_b32_e32 v160, v18
	v_mov_b32_e32 v161, v21
	v_fmac_f32_e32 v76, v101, v22
	v_pk_fma_f32 v[100:101], v[82:83], v[144:145], v[88:89] neg_lo:[0,0,1] neg_hi:[0,0,1]
	v_pk_fma_f32 v[82:83], v[82:83], v[144:145], v[88:89]
	v_pk_fma_f32 v[80:81], v[80:81], v[160:161], v[96:97]
	v_mov_b32_e32 v73, v100
	v_mov_b32_e32 v77, v164
	;; [unrolled: 1-line block ×11, first 2 shown]
	v_add_f32_e32 v89, v72, v76
	v_pk_add_f32 v[72:73], v[72:73], v[76:77] neg_lo:[0,1] neg_hi:[0,1]
	v_add_f32_e32 v76, v45, v43
	v_pk_add_f32 v[42:43], v[44:45], v[42:43] neg_lo:[0,1] neg_hi:[0,1]
	v_pk_add_f32 v[80:81], v[74:75], v[94:95]
	v_pk_add_f32 v[74:75], v[78:79], v[82:83] neg_lo:[0,1] neg_hi:[0,1]
	v_mov_b32_e32 v165, v163
	v_mov_b32_e32 v78, v74
	;; [unrolled: 1-line block ×5, first 2 shown]
	v_pk_add_f32 v[44:45], v[100:101], v[164:165]
	v_pk_add_f32 v[78:79], v[78:79], v[82:83] neg_lo:[0,1] neg_hi:[0,1]
	v_mov_b32_e32 v82, v72
	v_pk_add_f32 v[94:95], v[74:75], v[42:43]
	v_mov_b32_e32 v75, v43
	v_pk_add_f32 v[74:75], v[82:83], v[74:75] neg_lo:[0,1] neg_hi:[0,1]
	v_add_f32_e32 v82, v76, v44
	v_mov_b32_e32 v83, v45
	v_add_f32_e32 v97, v81, v89
	v_mov_b32_e32 v96, v80
	v_mov_b32_e32 v88, v80
	;; [unrolled: 1-line block ×3, first 2 shown]
	v_pk_add_f32 v[82:83], v[82:83], v[96:97]
	v_pk_add_f32 v[96:97], v[88:89], v[76:77] neg_lo:[0,1] neg_hi:[0,1]
	v_mov_b32_e32 v99, v55
	v_mov_b32_e32 v87, v51
	v_pk_add_f32 v[52:53], v[52:53], v[82:83]
	v_pk_mul_f32 v[96:97], v[96:97], s[22:23]
	v_pk_mul_f32 v[78:79], v[78:79], s[26:27]
	v_pk_add_f32 v[100:101], v[44:45], v[80:81] neg_lo:[0,1] neg_hi:[0,1]
	v_pk_fma_f32 v[40:41], v[40:41], s[30:31], v[98:99] op_sel_hi:[1,0,1] neg_lo:[0,0,1] neg_hi:[0,0,1]
	v_pk_fma_f32 v[46:47], v[46:47], s[28:29], v[86:87] op_sel_hi:[1,0,1] neg_lo:[0,0,1] neg_hi:[0,0,1]
	v_pk_add_f32 v[94:95], v[94:95], v[72:73]
	v_pk_fma_f32 v[82:83], v[82:83], s[20:21], v[52:53] op_sel_hi:[1,0,1] neg_lo:[1,0,0] neg_hi:[1,0,0]
	v_pk_fma_f32 v[162:163], v[100:101], s[24:25], v[96:97]
	v_pk_fma_f32 v[164:165], v[74:75], s[18:19], v[78:79]
	v_pk_add_f32 v[40:41], v[40:41], v[48:49]
	v_pk_fma_f32 v[46:47], v[92:93], s[16:17], v[46:47] op_sel_hi:[1,0,1]
	v_pk_add_f32 v[162:163], v[162:163], v[82:83]
	v_pk_fma_f32 v[164:165], v[94:95], s[16:17], v[164:165] op_sel_hi:[1,0,1]
	v_pk_add_f32 v[48:49], v[40:41], v[46:47]
	v_pk_add_f32 v[40:41], v[40:41], v[46:47] neg_lo:[0,1] neg_hi:[0,1]
	v_pk_add_f32 v[172:173], v[162:163], v[164:165] neg_lo:[0,1] neg_hi:[0,1]
	v_pk_add_f32 v[162:163], v[162:163], v[164:165]
	v_mov_b32_e32 v46, v40
	v_mov_b32_e32 v47, v49
	;; [unrolled: 1-line block ×3, first 2 shown]
	v_lshlrev_b32_e32 v19, 3, v67
	v_pk_mul_f32 v[40:41], v[100:101], s[24:25]
	v_pk_mul_f32 v[50:51], v[74:75], s[18:19]
	ds_write2_b64 v167, v[46:47], v[48:49] offset1:224
	v_mov_b32_e32 v91, v71
	v_mov_b32_e32 v171, v179
	;; [unrolled: 1-line block ×4, first 2 shown]
	v_add_u32_e32 v32, 0x6200, v19
	v_mov_b32_e32 v77, v81
	v_mov_b32_e32 v45, v89
	ds_write2_b64 v59, v[90:91], v[170:171] offset1:224
	ds_write2_b64 v32, v[52:53], v[46:47] offset1:224
	v_pk_add_f32 v[44:45], v[76:77], v[44:45] neg_lo:[0,1] neg_hi:[0,1]
	v_pk_add_f32 v[42:43], v[42:43], v[72:73] neg_lo:[0,1] neg_hi:[0,1]
	v_mov_b32_e32 v47, v97
	v_mov_b32_e32 v48, v50
	;; [unrolled: 1-line block ×6, first 2 shown]
	v_pk_fma_f32 v[48:49], v[42:43], s[28:29], v[48:49] op_sel_hi:[1,0,1] neg_lo:[1,0,1] neg_hi:[1,0,1]
	v_pk_fma_f32 v[40:41], v[44:45], s[30:31], v[96:97] op_sel_hi:[1,0,1] neg_lo:[0,0,1] neg_hi:[0,0,1]
	;; [unrolled: 1-line block ×4, first 2 shown]
	v_pk_add_f32 v[40:41], v[40:41], v[82:83]
	v_pk_fma_f32 v[42:43], v[94:95], s[16:17], v[42:43] op_sel_hi:[1,0,1]
	v_pk_add_f32 v[46:47], v[46:47], v[82:83]
	v_pk_fma_f32 v[48:49], v[94:95], s[16:17], v[48:49] op_sel_hi:[1,0,1]
	v_pk_add_f32 v[44:45], v[40:41], v[42:43]
	v_pk_add_f32 v[40:41], v[40:41], v[42:43] neg_lo:[0,1] neg_hi:[0,1]
	v_pk_add_f32 v[52:53], v[46:47], v[48:49] neg_lo:[0,1] neg_hi:[0,1]
	v_pk_add_f32 v[46:47], v[46:47], v[48:49]
	v_mov_b32_e32 v42, v40
	v_mov_b32_e32 v43, v45
	;; [unrolled: 1-line block ×3, first 2 shown]
	s_movk_i32 s14, 0x3000
	v_lshl_add_u64 v[40:41], s[0:1], 0, v[60:61]
	v_mov_b32_e32 v48, v46
	v_mov_b32_e32 v49, v53
	v_add_u32_e32 v32, 0x7000, v19
	v_add_co_u32_e32 v40, vcc, s14, v40
	ds_write2_b64 v32, v[48:49], v[42:43] offset1:224
	v_mov_b32_e32 v53, v47
	v_add_u32_e32 v32, 0x7e00, v19
	v_mov_b32_e32 v173, v163
	v_addc_co_u32_e32 v41, vcc, 0, v41, vcc
	ds_write2_b64 v32, v[44:45], v[52:53] offset1:224
	ds_write_b64 v19, v[172:173] offset:35840
	s_waitcnt lgkmcnt(0)
	s_barrier
	global_load_dwordx4 v[48:51], v[40:41], off offset:192
	v_lshlrev_b32_e32 v32, 5, v122
	v_sub_co_u32_e32 v32, vcc, v68, v32
	v_lshlrev_b32_e32 v60, 4, v56
	s_nop 0
	v_subbrev_co_u32_e32 v41, vcc, 0, v69, vcc
	v_add_co_u32_e32 v40, vcc, s14, v32
	v_lshl_add_u64 v[86:87], s[0:1], 0, v[60:61]
	s_nop 0
	v_addc_co_u32_e32 v41, vcc, 0, v41, vcc
	global_load_dwordx4 v[44:47], v[40:41], off offset:192
	v_lshlrev_b32_e32 v60, 4, v66
	v_lshl_add_u64 v[40:41], s[0:1], 0, v[60:61]
	v_add_co_u32_e32 v40, vcc, s14, v40
	v_lshlrev_b32_e32 v60, 4, v64
	s_nop 0
	v_addc_co_u32_e32 v41, vcc, 0, v41, vcc
	global_load_dwordx4 v[40:43], v[40:41], off offset:192
	v_lshl_add_u64 v[90:91], s[0:1], 0, v[60:61]
	v_lshlrev_b32_e32 v60, 4, v62
	v_lshl_add_u64 v[52:53], s[0:1], 0, v[60:61]
	v_mov_b32_e32 v32, 0x5400
	v_add_co_u32_e32 v52, vcc, s14, v52
	v_lshl_add_u32 v60, v122, 4, v32
	s_nop 0
	v_addc_co_u32_e32 v53, vcc, 0, v53, vcc
	v_lshl_add_u64 v[54:55], s[0:1], 0, v[60:61]
	v_add_co_u32_e32 v54, vcc, s14, v54
	ds_read2_b64 v[68:71], v176 offset1:224
	ds_read2_b64 v[76:79], v59 offset1:224
	;; [unrolled: 1-line block ×4, first 2 shown]
	v_addc_co_u32_e32 v55, vcc, 0, v55, vcc
	v_add_co_u32_e32 v60, vcc, s14, v86
	global_load_dwordx4 v[56:59], v[52:53], off offset:192
	s_nop 0
	global_load_dwordx4 v[52:55], v[54:55], off offset:192
	v_addc_co_u32_e32 v61, vcc, 0, v87, vcc
	global_load_dwordx4 v[64:67], v[60:61], off offset:192
	v_add_co_u32_e32 v60, vcc, s14, v90
	ds_read2_b64 v[86:89], v63 offset1:224
	s_nop 0
	v_addc_co_u32_e32 v61, vcc, 0, v91, vcc
	global_load_dwordx4 v[60:63], v[60:61], off offset:192
	ds_read2_b64 v[90:93], v104 offset1:224
	ds_read2_b64 v[94:97], v168 offset1:224
	s_mov_b32 s0, 0x3f5db3d7
	s_movk_i32 s15, 0x7000
	s_waitcnt vmcnt(6) lgkmcnt(3)
	v_pk_mul_f32 v[98:99], v[80:81], v[48:49] op_sel:[0,1]
	s_nop 0
	v_pk_fma_f32 v[100:101], v[80:81], v[48:49], v[98:99] op_sel:[0,0,1] op_sel_hi:[1,1,0] neg_lo:[0,0,1] neg_hi:[0,0,1]
	v_pk_fma_f32 v[80:81], v[80:81], v[48:49], v[98:99] op_sel:[0,0,1] op_sel_hi:[1,0,0]
	v_mov_b32_e32 v32, v51
	v_mov_b32_e32 v101, v81
	s_waitcnt lgkmcnt(0)
	v_pk_mul_f32 v[80:81], v[96:97], v[32:33] op_sel_hi:[1,0]
	s_waitcnt vmcnt(5)
	v_mov_b32_e32 v32, v47
	v_pk_fma_f32 v[168:169], v[96:97], v[50:51], v[80:81] op_sel:[0,0,1] op_sel_hi:[1,1,0] neg_lo:[0,0,1] neg_hi:[0,0,1]
	v_pk_fma_f32 v[80:81], v[96:97], v[50:51], v[80:81] op_sel:[0,0,1] op_sel_hi:[1,0,0]
	v_pk_mul_f32 v[162:163], v[94:95], v[32:33] op_sel_hi:[1,0]
	v_mov_b32_e32 v169, v81
	v_pk_add_f32 v[80:81], v[100:101], v[168:169]
	v_pk_add_f32 v[96:97], v[100:101], v[168:169] neg_lo:[0,1] neg_hi:[0,1]
	v_pk_fma_f32 v[80:81], v[80:81], 0.5, v[92:93] op_sel_hi:[1,0,1] neg_lo:[1,0,0] neg_hi:[1,0,0]
	v_pk_mul_f32 v[96:97], v[96:97], s[0:1] op_sel_hi:[1,0]
	v_pk_fma_f32 v[172:173], v[94:95], v[46:47], v[162:163] op_sel:[0,0,1] op_sel_hi:[1,1,0] neg_lo:[0,0,1] neg_hi:[0,0,1]
	v_pk_add_f32 v[170:171], v[80:81], v[96:97] op_sel:[0,1] op_sel_hi:[1,0] neg_lo:[0,1] neg_hi:[0,1]
	v_pk_add_f32 v[80:81], v[80:81], v[96:97] op_sel:[0,1] op_sel_hi:[1,0]
	v_mov_b32_e32 v96, v170
	v_mov_b32_e32 v97, v81
	ds_write_b64 v104, v[96:97] offset:26880
	ds_read2_b64 v[96:99], v167 offset1:224
	v_pk_fma_f32 v[178:179], v[94:95], v[46:47], v[162:163] op_sel:[0,0,1] op_sel_hi:[1,0,0]
	ds_read2_b64 v[162:165], v166 offset1:224
	s_waitcnt vmcnt(4)
	v_mov_b32_e32 v32, v43
	v_mov_b32_e32 v173, v179
	s_waitcnt lgkmcnt(1)
	v_pk_mul_f32 v[94:95], v[96:97], v[40:41] op_sel:[0,1]
	v_mov_b32_e32 v81, v171
	v_pk_fma_f32 v[180:181], v[96:97], v[40:41], v[94:95] op_sel:[0,0,1] op_sel_hi:[1,1,0] neg_lo:[0,0,1] neg_hi:[0,0,1]
	v_pk_fma_f32 v[94:95], v[96:97], v[40:41], v[94:95] op_sel:[0,0,1] op_sel_hi:[1,0,0]
	s_waitcnt lgkmcnt(0)
	v_pk_mul_f32 v[166:167], v[164:165], v[32:33] op_sel_hi:[1,0]
	v_mov_b32_e32 v181, v95
	ds_read2_b64 v[94:97], v177 offset1:224
	v_pk_fma_f32 v[182:183], v[164:165], v[42:43], v[166:167] op_sel:[0,0,1] op_sel_hi:[1,1,0] neg_lo:[0,0,1] neg_hi:[0,0,1]
	v_pk_fma_f32 v[164:165], v[164:165], v[42:43], v[166:167] op_sel:[0,0,1] op_sel_hi:[1,0,0]
	v_add_u32_e32 v32, 0x3100, v104
	v_mov_b32_e32 v183, v165
	v_pk_add_f32 v[164:165], v[180:181], v[182:183]
	v_pk_add_f32 v[166:167], v[180:181], v[182:183] neg_lo:[0,1] neg_hi:[0,1]
	s_waitcnt lgkmcnt(0)
	v_pk_fma_f32 v[164:165], v[164:165], 0.5, v[96:97] op_sel_hi:[1,0,1] neg_lo:[1,0,0] neg_hi:[1,0,0]
	v_pk_mul_f32 v[166:167], v[166:167], s[0:1] op_sel_hi:[1,0]
	v_pk_add_f32 v[92:93], v[92:93], v[100:101]
	v_pk_add_f32 v[184:185], v[164:165], v[166:167] op_sel:[0,1] op_sel_hi:[1,0]
	v_pk_add_f32 v[164:165], v[164:165], v[166:167] op_sel:[0,1] op_sel_hi:[1,0] neg_lo:[0,1] neg_hi:[0,1]
	v_mov_b32_e32 v166, v184
	v_mov_b32_e32 v167, v165
	;; [unrolled: 1-line block ×3, first 2 shown]
	ds_write_b64 v104, v[164:165] offset:30464
	v_pk_mul_f32 v[164:165], v[88:89], v[44:45] op_sel:[0,1]
	ds_write_b64 v104, v[166:167] offset:17920
	v_pk_fma_f32 v[166:167], v[88:89], v[44:45], v[164:165] op_sel:[0,0,1] op_sel_hi:[1,1,0] neg_lo:[0,0,1] neg_hi:[0,0,1]
	v_pk_fma_f32 v[88:89], v[88:89], v[44:45], v[164:165] op_sel:[0,0,1] op_sel_hi:[1,0,0]
	v_pk_add_f32 v[92:93], v[92:93], v[168:169]
	v_mov_b32_e32 v167, v89
	v_pk_add_f32 v[88:89], v[166:167], v[172:173]
	v_pk_add_f32 v[164:165], v[166:167], v[172:173] neg_lo:[0,1] neg_hi:[0,1]
	v_pk_fma_f32 v[88:89], v[88:89], 0.5, v[90:91] op_sel_hi:[1,0,1] neg_lo:[1,0,0] neg_hi:[1,0,0]
	v_pk_mul_f32 v[164:165], v[164:165], s[0:1] op_sel_hi:[1,0]
	v_pk_add_f32 v[90:91], v[90:91], v[166:167]
	v_pk_add_f32 v[170:171], v[88:89], v[164:165] op_sel:[0,1] op_sel_hi:[1,0]
	v_pk_add_f32 v[88:89], v[88:89], v[164:165] op_sel:[0,1] op_sel_hi:[1,0] neg_lo:[0,1] neg_hi:[0,1]
	v_mov_b32_e32 v165, v171
	v_mov_b32_e32 v164, v88
	;; [unrolled: 1-line block ×3, first 2 shown]
	ds_write_b64 v104, v[164:165] offset:25088
	ds_read_b64 v[88:89], v104 offset:35840
	ds_write2_b64 v32, v[170:171], v[80:81] offset1:224
	s_waitcnt vmcnt(3)
	v_pk_mul_f32 v[80:81], v[76:77], v[56:57] op_sel:[0,1]
	s_waitcnt vmcnt(1)
	v_mov_b32_e32 v32, v67
	v_pk_fma_f32 v[178:179], v[76:77], v[56:57], v[80:81] op_sel:[0,0,1] op_sel_hi:[1,1,0] neg_lo:[0,0,1] neg_hi:[0,0,1]
	v_pk_fma_f32 v[76:77], v[76:77], v[56:57], v[80:81] op_sel:[0,0,1] op_sel_hi:[1,0,0]
	v_pk_mul_f32 v[80:81], v[78:79], v[52:53] op_sel:[0,1]
	v_mov_b32_e32 v179, v77
	v_pk_fma_f32 v[170:171], v[78:79], v[52:53], v[80:81] op_sel:[0,0,1] op_sel_hi:[1,1,0] neg_lo:[0,0,1] neg_hi:[0,0,1]
	v_pk_fma_f32 v[78:79], v[78:79], v[52:53], v[80:81] op_sel:[0,0,1] op_sel_hi:[1,0,0]
	v_pk_mul_f32 v[80:81], v[82:83], v[64:65] op_sel:[0,1]
	v_pk_add_f32 v[90:91], v[90:91], v[172:173]
	v_pk_fma_f32 v[184:185], v[82:83], v[64:65], v[80:81] op_sel:[0,0,1] op_sel_hi:[1,1,0] neg_lo:[0,0,1] neg_hi:[0,0,1]
	v_pk_fma_f32 v[80:81], v[82:83], v[64:65], v[80:81] op_sel:[0,0,1] op_sel_hi:[1,0,0]
	v_pk_mul_f32 v[82:83], v[162:163], v[32:33] op_sel_hi:[1,0]
	v_mov_b32_e32 v32, v59
	v_pk_fma_f32 v[186:187], v[162:163], v[66:67], v[82:83] op_sel:[0,0,1] op_sel_hi:[1,1,0] neg_lo:[0,0,1] neg_hi:[0,0,1]
	v_pk_fma_f32 v[82:83], v[162:163], v[66:67], v[82:83] op_sel:[0,0,1] op_sel_hi:[1,0,0]
	s_waitcnt vmcnt(0)
	v_pk_mul_f32 v[162:163], v[98:99], v[60:61] op_sel:[0,1]
	ds_write2_b64 v104, v[90:91], v[92:93] offset1:224
	v_pk_fma_f32 v[188:189], v[98:99], v[60:61], v[162:163] op_sel:[0,0,1] op_sel_hi:[1,1,0] neg_lo:[0,0,1] neg_hi:[0,0,1]
	v_pk_fma_f32 v[98:99], v[98:99], v[60:61], v[162:163] op_sel:[0,0,1] op_sel_hi:[1,0,0]
	v_pk_mul_f32 v[162:163], v[74:75], v[32:33] op_sel_hi:[1,0]
	v_mov_b32_e32 v32, v63
	v_pk_fma_f32 v[190:191], v[74:75], v[58:59], v[162:163] op_sel:[0,0,1] op_sel_hi:[1,1,0] neg_lo:[0,0,1] neg_hi:[0,0,1]
	v_pk_fma_f32 v[74:75], v[74:75], v[58:59], v[162:163] op_sel:[0,0,1] op_sel_hi:[1,0,0]
	v_pk_mul_f32 v[162:163], v[72:73], v[32:33] op_sel_hi:[1,0]
	v_mov_b32_e32 v191, v75
	v_pk_add_f32 v[74:75], v[178:179], v[190:191]
	v_pk_add_f32 v[76:77], v[178:179], v[190:191] neg_lo:[0,1] neg_hi:[0,1]
	v_pk_fma_f32 v[74:75], v[74:75], 0.5, v[70:71] op_sel_hi:[1,0,1] neg_lo:[1,0,0] neg_hi:[1,0,0]
	v_pk_mul_f32 v[76:77], v[76:77], s[0:1] op_sel_hi:[1,0]
	v_mov_b32_e32 v32, v55
	v_pk_add_f32 v[90:91], v[74:75], v[76:77] op_sel:[0,1] op_sel_hi:[1,0] neg_lo:[0,1] neg_hi:[0,1]
	v_pk_add_f32 v[164:165], v[74:75], v[76:77] op_sel:[0,1] op_sel_hi:[1,0]
	s_waitcnt lgkmcnt(2)
	v_pk_mul_f32 v[74:75], v[88:89], v[32:33] op_sel_hi:[1,0]
	v_mov_b32_e32 v171, v79
	v_pk_fma_f32 v[76:77], v[88:89], v[54:55], v[74:75] op_sel:[0,0,1] op_sel_hi:[1,1,0] neg_lo:[0,0,1] neg_hi:[0,0,1]
	v_pk_fma_f32 v[74:75], v[88:89], v[54:55], v[74:75] op_sel:[0,0,1] op_sel_hi:[1,0,0]
	v_pk_add_f32 v[78:79], v[86:87], v[170:171]
	v_mov_b32_e32 v77, v75
	v_pk_add_f32 v[74:75], v[170:171], v[76:77]
	v_mov_b32_e32 v185, v81
	v_pk_fma_f32 v[74:75], v[74:75], 0.5, v[86:87] op_sel_hi:[1,0,1] neg_lo:[1,0,0] neg_hi:[1,0,0]
	v_pk_add_f32 v[86:87], v[170:171], v[76:77] neg_lo:[0,1] neg_hi:[0,1]
	v_pk_fma_f32 v[192:193], v[72:73], v[62:63], v[162:163] op_sel:[0,0,1] op_sel_hi:[1,1,0] neg_lo:[0,0,1] neg_hi:[0,0,1]
	v_pk_fma_f32 v[72:73], v[72:73], v[62:63], v[162:163] op_sel:[0,0,1] op_sel_hi:[1,0,0]
	v_pk_add_f32 v[166:167], v[78:79], v[76:77]
	v_pk_mul_f32 v[76:77], v[86:87], s[0:1] op_sel_hi:[1,0]
	v_mov_b32_e32 v187, v83
	v_pk_add_f32 v[80:81], v[94:95], v[184:185]
	v_pk_add_f32 v[78:79], v[74:75], v[76:77] op_sel:[0,1] op_sel_hi:[1,0]
	v_pk_add_f32 v[172:173], v[74:75], v[76:77] op_sel:[0,1] op_sel_hi:[1,0] neg_lo:[0,1] neg_hi:[0,1]
	v_pk_add_f32 v[76:77], v[184:185], v[186:187]
	v_mov_b32_e32 v193, v73
	v_pk_add_f32 v[72:73], v[80:81], v[186:187]
	v_pk_add_f32 v[80:81], v[184:185], v[186:187] neg_lo:[0,1] neg_hi:[0,1]
	v_pk_fma_f32 v[76:77], v[76:77], 0.5, v[94:95] op_sel_hi:[1,0,1] neg_lo:[1,0,0] neg_hi:[1,0,0]
	v_pk_mul_f32 v[80:81], v[80:81], s[0:1] op_sel_hi:[1,0]
	v_pk_add_f32 v[74:75], v[96:97], v[180:181]
	v_pk_add_f32 v[82:83], v[76:77], v[80:81] op_sel:[0,1] op_sel_hi:[1,0]
	v_pk_add_f32 v[76:77], v[76:77], v[80:81] op_sel:[0,1] op_sel_hi:[1,0] neg_lo:[0,1] neg_hi:[0,1]
	v_mov_b32_e32 v189, v99
	v_mov_b32_e32 v80, v76
	;; [unrolled: 1-line block ×4, first 2 shown]
	v_pk_add_f32 v[74:75], v[74:75], v[182:183]
	ds_write_b64 v104, v[80:81] offset:28672
	ds_write_b64 v104, v[82:83] offset:16128
	ds_write2_b64 v177, v[72:73], v[74:75] offset1:224
	v_pk_add_f32 v[72:73], v[188:189], v[192:193]
	v_pk_add_f32 v[80:81], v[68:69], v[188:189]
	v_pk_fma_f32 v[68:69], v[72:73], 0.5, v[68:69] op_sel_hi:[1,0,1] neg_lo:[1,0,0] neg_hi:[1,0,0]
	v_pk_add_f32 v[72:73], v[188:189], v[192:193] neg_lo:[0,1] neg_hi:[0,1]
	v_pk_add_f32 v[80:81], v[80:81], v[192:193]
	v_pk_mul_f32 v[72:73], v[72:73], s[0:1] op_sel_hi:[1,0]
	s_mov_b32 s0, 0x9000
	v_pk_add_f32 v[74:75], v[68:69], v[72:73] op_sel:[0,1] op_sel_hi:[1,0]
	v_pk_add_f32 v[68:69], v[68:69], v[72:73] op_sel:[0,1] op_sel_hi:[1,0] neg_lo:[0,1] neg_hi:[0,1]
	v_mov_b32_e32 v169, v165
	v_mov_b32_e32 v73, v69
	;; [unrolled: 1-line block ×3, first 2 shown]
	ds_write_b64 v104, v[68:69] offset:32256
	v_pk_add_f32 v[68:69], v[70:71], v[178:179]
	v_mov_b32_e32 v72, v74
	v_pk_add_f32 v[68:69], v[68:69], v[190:191]
	ds_write2_b64 v176, v[80:81], v[68:69] offset1:224
	v_mov_b32_e32 v165, v91
	v_add_u32_e32 v32, 0x4d00, v104
	v_add_co_u32_e32 v68, vcc, s0, v84
	v_mov_b32_e32 v168, v90
	v_mov_b32_e32 v170, v78
	;; [unrolled: 1-line block ×3, first 2 shown]
	ds_write2_b64 v32, v[72:73], v[164:165] offset1:224
	ds_write_b64 v104, v[166:167] offset:10752
	ds_write_b64 v104, v[170:171] offset:23296
	v_mov_b32_e32 v173, v79
	v_add_u32_e32 v32, 0x8500, v104
	v_addc_co_u32_e32 v69, vcc, 0, v85, vcc
	ds_write2_b64 v32, v[168:169], v[172:173] offset1:224
	s_waitcnt lgkmcnt(0)
	s_barrier
	global_load_dwordx2 v[70:71], v[68:69], off offset:768
	s_mov_b64 s[0:1], 0x9300
	v_lshl_add_u64 v[68:69], v[84:85], 0, s[0:1]
	s_mov_b32 s0, 0xa000
	v_add_co_u32_e32 v72, vcc, s0, v84
	s_mov_b32 s0, 0xb000
	s_nop 0
	v_addc_co_u32_e32 v73, vcc, 0, v85, vcc
	global_load_dwordx2 v[76:77], v[72:73], off offset:1376
	global_load_dwordx2 v[80:81], v[72:73], off offset:3168
	;; [unrolled: 1-line block ×3, first 2 shown]
	v_add_co_u32_e32 v72, vcc, s0, v84
	s_mov_b32 s0, 0xc000
	s_nop 0
	v_addc_co_u32_e32 v73, vcc, 0, v85, vcc
	global_load_dwordx2 v[82:83], v[72:73], off offset:1984
	global_load_dwordx2 v[86:87], v[72:73], off offset:3776
	v_add_co_u32_e32 v72, vcc, s0, v84
	s_mov_b32 s0, 0xd000
	s_nop 0
	v_addc_co_u32_e32 v73, vcc, 0, v85, vcc
	global_load_dwordx2 v[88:89], v[72:73], off offset:2592
	v_add_co_u32_e32 v72, vcc, s0, v84
	s_mov_b32 s0, 0xe000
	s_nop 0
	v_addc_co_u32_e32 v73, vcc, 0, v85, vcc
	global_load_dwordx2 v[90:91], v[72:73], off offset:288
	global_load_dwordx2 v[92:93], v[72:73], off offset:3200
	v_add_co_u32_e32 v72, vcc, s0, v84
	s_mov_b32 s0, 0xf000
	s_nop 0
	v_addc_co_u32_e32 v73, vcc, 0, v85, vcc
	global_load_dwordx2 v[94:95], v[72:73], off offset:896
	global_load_dwordx2 v[96:97], v[72:73], off offset:3808
	v_add_co_u32_e32 v72, vcc, s0, v84
	s_mov_b32 s0, 0x10000
	s_nop 0
	v_addc_co_u32_e32 v73, vcc, 0, v85, vcc
	global_load_dwordx2 v[98:99], v[72:73], off offset:1504
	v_add_co_u32_e32 v100, vcc, s0, v84
	s_mov_b32 s0, 0x11000
	s_nop 0
	v_addc_co_u32_e32 v101, vcc, 0, v85, vcc
	v_add_co_u32_e32 v84, vcc, s0, v84
	global_load_dwordx2 v[162:163], v[100:101], off offset:320
	s_nop 0
	v_addc_co_u32_e32 v85, vcc, 0, v85, vcc
	global_load_dwordx2 v[176:177], v[84:85], off offset:928
	ds_read2_b64 v[72:75], v104 offset1:224
	global_load_dwordx2 v[84:85], v[84:85], off offset:2720
	s_nop 0
	global_load_dwordx2 v[100:101], v[100:101], off offset:2112
	s_waitcnt vmcnt(15) lgkmcnt(0)
	v_mul_f32_e32 v32, v73, v71
	v_mul_f32_e32 v179, v72, v71
	v_fma_f32 v178, v72, v70, -v32
	v_fmac_f32_e32 v179, v73, v70
	ds_write_b64 v104, v[178:179]
	v_add_u32_e32 v32, 0x1200, v104
	ds_read2_b64 v[70:73], v32 offset0:12 offset1:236
	s_waitcnt vmcnt(12)
	v_mul_f32_e32 v178, v75, v79
	v_mul_f32_e32 v179, v74, v79
	v_fma_f32 v178, v74, v78, -v178
	v_fmac_f32_e32 v179, v75, v78
	s_waitcnt lgkmcnt(0)
	v_mul_f32_e32 v74, v71, v77
	v_mul_f32_e32 v181, v70, v77
	v_add_u32_e32 v78, 0x2400, v104
	v_fma_f32 v180, v70, v76, -v74
	v_fmac_f32_e32 v181, v71, v76
	ds_read2_b64 v[74:77], v78 offset0:24 offset1:248
	v_mul_f32_e32 v70, v73, v81
	v_fma_f32 v182, v72, v80, -v70
	v_mul_f32_e32 v183, v72, v81
	v_add_u32_e32 v79, 0x3700, v104
	s_waitcnt vmcnt(11) lgkmcnt(0)
	v_mul_f32_e32 v70, v75, v83
	v_fmac_f32_e32 v183, v73, v80
	v_fma_f32 v80, v74, v82, -v70
	ds_read2_b64 v[70:73], v79 offset0:4 offset1:228
	v_mul_f32_e32 v81, v74, v83
	s_waitcnt vmcnt(10)
	v_mul_f32_e32 v74, v77, v87
	v_mul_f32_e32 v83, v76, v87
	v_fmac_f32_e32 v81, v75, v82
	v_fma_f32 v82, v76, v86, -v74
	v_fmac_f32_e32 v83, v77, v86
	s_waitcnt vmcnt(9) lgkmcnt(0)
	v_mul_f32_e32 v74, v71, v89
	v_add_u32_e32 v86, 0x4900, v104
	v_fma_f32 v184, v70, v88, -v74
	ds_read2_b64 v[74:77], v86 offset0:16 offset1:240
	v_mul_f32_e32 v185, v70, v89
	s_waitcnt vmcnt(8)
	v_mul_f32_e32 v70, v73, v91
	v_fmac_f32_e32 v185, v71, v88
	v_fma_f32 v88, v72, v90, -v70
	v_mul_f32_e32 v89, v72, v91
	s_waitcnt vmcnt(7) lgkmcnt(0)
	v_mul_f32_e32 v70, v75, v93
	v_add_u32_e32 v87, 0x5b00, v104
	v_fmac_f32_e32 v89, v73, v90
	v_fma_f32 v90, v74, v92, -v70
	ds_read2_b64 v[70:73], v87 offset0:28 offset1:252
	v_mul_f32_e32 v91, v74, v93
	s_waitcnt vmcnt(6)
	v_mul_f32_e32 v74, v77, v95
	v_fmac_f32_e32 v91, v75, v92
	v_fma_f32 v74, v76, v94, -v74
	v_mul_f32_e32 v75, v76, v95
	s_waitcnt vmcnt(5) lgkmcnt(0)
	v_mul_f32_e32 v76, v71, v97
	v_fmac_f32_e32 v75, v77, v94
	v_fma_f32 v76, v70, v96, -v76
	v_mul_f32_e32 v77, v70, v97
	s_waitcnt vmcnt(4)
	v_mul_f32_e32 v70, v73, v99
	v_mul_f32_e32 v93, v72, v99
	ds_write2_b64 v32, v[180:181], v[182:183] offset0:12 offset1:236
	ds_write2_b64 v78, v[80:81], v[82:83] offset0:24 offset1:248
	v_add_u32_e32 v94, 0x6e00, v104
	v_fmac_f32_e32 v77, v71, v96
	v_fma_f32 v92, v72, v98, -v70
	v_fmac_f32_e32 v93, v73, v98
	ds_read2_b64 v[70:73], v94 offset0:8 offset1:232
	v_add_u32_e32 v95, 0x8000, v104
	ds_write2_b64 v86, v[90:91], v[74:75] offset0:16 offset1:240
	ds_write2_b64 v87, v[76:77], v[92:93] offset0:28 offset1:252
	ds_read2_b64 v[74:77], v95 offset0:20 offset1:244
	s_waitcnt vmcnt(3) lgkmcnt(3)
	v_mul_f32_e32 v80, v71, v163
	v_mul_f32_e32 v81, v70, v163
	v_fma_f32 v80, v70, v162, -v80
	v_fmac_f32_e32 v81, v71, v162
	s_waitcnt vmcnt(2) lgkmcnt(0)
	v_mul_f32_e32 v70, v75, v177
	v_mul_f32_e32 v71, v74, v177
	v_fma_f32 v70, v74, v176, -v70
	v_fmac_f32_e32 v71, v75, v176
	s_waitcnt vmcnt(0)
	v_mul_f32_e32 v74, v73, v101
	v_mul_f32_e32 v75, v72, v101
	v_fma_f32 v74, v72, v100, -v74
	v_fmac_f32_e32 v75, v73, v100
	v_mul_f32_e32 v72, v77, v85
	v_mul_f32_e32 v73, v76, v85
	v_mov_b32_e32 v162, v23
	v_fma_f32 v72, v76, v84, -v72
	v_fmac_f32_e32 v73, v77, v84
	ds_write2_b64 v79, v[184:185], v[88:89] offset0:4 offset1:228
	ds_write_b64 v104, v[178:179] offset:1792
	ds_write2_b64 v94, v[80:81], v[74:75] offset0:8 offset1:232
	ds_write2_b64 v95, v[70:71], v[72:73] offset0:20 offset1:244
	s_and_saveexec_b64 s[0:1], s[6:7]
	s_cbranch_execz .LBB0_13
; %bb.12:
	v_add_co_u32_e32 v70, vcc, 0x2000, v68
	s_nop 1
	v_addc_co_u32_e32 v71, vcc, 0, v69, vcc
	v_add_co_u32_e32 v74, vcc, s14, v68
	s_movk_i32 s14, 0x4000
	s_nop 0
	v_addc_co_u32_e32 v75, vcc, 0, v69, vcc
	v_add_co_u32_e32 v76, vcc, s14, v68
	s_movk_i32 s14, 0x5000
	s_nop 0
	v_addc_co_u32_e32 v77, vcc, 0, v69, vcc
	v_add_co_u32_e32 v80, vcc, s14, v68
	global_load_dwordx2 v[72:73], v[68:69], off offset:3584
	s_nop 0
	global_load_dwordx2 v[70:71], v[70:71], off offset:96
	v_addc_co_u32_e32 v81, vcc, 0, v69, vcc
	s_movk_i32 s14, 0x6000
	v_add_co_u32_e32 v82, vcc, s14, v68
	global_load_dwordx2 v[74:75], v[74:75], off offset:704
	s_nop 0
	global_load_dwordx2 v[76:77], v[76:77], off offset:1312
	v_addc_co_u32_e32 v83, vcc, 0, v69, vcc
	global_load_dwordx2 v[80:81], v[80:81], off offset:1920
	v_add_co_u32_e32 v84, vcc, s15, v68
	global_load_dwordx2 v[82:83], v[82:83], off offset:2528
	s_nop 0
	v_addc_co_u32_e32 v85, vcc, 0, v69, vcc
	global_load_dwordx2 v[84:85], v[84:85], off offset:3136
	v_add_co_u32_e32 v68, vcc, 0x8000, v68
	s_nop 1
	v_addc_co_u32_e32 v69, vcc, 0, v69, vcc
	global_load_dwordx2 v[68:69], v[68:69], off offset:3744
	ds_read_b64 v[88:89], v104 offset:3584
	ds_read_b64 v[90:91], v104 offset:8288
	;; [unrolled: 1-line block ×8, first 2 shown]
	s_waitcnt vmcnt(7) lgkmcnt(7)
	v_mul_f32_e32 v163, v89, v73
	v_mul_f32_e32 v181, v88, v73
	v_fma_f32 v180, v88, v72, -v163
	v_fmac_f32_e32 v181, v89, v72
	s_waitcnt vmcnt(6) lgkmcnt(6)
	v_mul_f32_e32 v72, v91, v71
	v_mul_f32_e32 v73, v90, v71
	v_fma_f32 v72, v90, v70, -v72
	v_fmac_f32_e32 v73, v91, v70
	;; [unrolled: 5-line block ×3, first 2 shown]
	ds_write_b64 v104, v[72:73] offset:8288
	s_waitcnt vmcnt(4) lgkmcnt(5)
	v_mul_f32_e32 v72, v97, v77
	v_mul_f32_e32 v73, v96, v77
	ds_write_b64 v104, v[70:71] offset:12992
	s_waitcnt vmcnt(3) lgkmcnt(5)
	v_mul_f32_e32 v70, v99, v81
	v_mul_f32_e32 v71, v98, v81
	v_fma_f32 v72, v96, v76, -v72
	v_fmac_f32_e32 v73, v97, v76
	v_fma_f32 v70, v98, v80, -v70
	v_fmac_f32_e32 v71, v99, v80
	ds_write_b64 v104, v[72:73] offset:17696
	s_waitcnt vmcnt(2) lgkmcnt(5)
	v_mul_f32_e32 v72, v101, v83
	v_mul_f32_e32 v73, v100, v83
	ds_write_b64 v104, v[70:71] offset:22400
	s_waitcnt vmcnt(1) lgkmcnt(5)
	v_mul_f32_e32 v70, v177, v85
	v_mul_f32_e32 v71, v176, v85
	v_fma_f32 v72, v100, v82, -v72
	v_fmac_f32_e32 v73, v101, v82
	v_fma_f32 v70, v176, v84, -v70
	v_fmac_f32_e32 v71, v177, v84
	ds_write_b64 v104, v[72:73] offset:27104
	s_waitcnt vmcnt(0) lgkmcnt(5)
	v_mul_f32_e32 v72, v179, v69
	ds_write_b64 v104, v[70:71] offset:31808
	v_mul_f32_e32 v71, v178, v69
	v_fma_f32 v70, v178, v68, -v72
	v_fmac_f32_e32 v71, v179, v68
	ds_write_b64 v104, v[180:181] offset:3584
	ds_write_b64 v104, v[70:71] offset:36512
.LBB0_13:
	s_or_b64 exec, exec, s[0:1]
	s_waitcnt lgkmcnt(0)
	s_barrier
	ds_read2_b64 v[74:77], v104 offset1:224
	ds_read2_b64 v[70:73], v32 offset0:12 offset1:236
	ds_read2_b64 v[82:85], v78 offset0:24 offset1:248
	;; [unrolled: 1-line block ×7, first 2 shown]
	s_and_saveexec_b64 s[0:1], s[6:7]
	s_cbranch_execz .LBB0_15
; %bb.14:
	ds_read_b64 v[168:169], v104 offset:8288
	ds_read_b64 v[166:167], v104 offset:12992
	;; [unrolled: 1-line block ×8, first 2 shown]
.LBB0_15:
	s_or_b64 exec, exec, s[0:1]
	s_waitcnt lgkmcnt(2)
	v_pk_add_f32 v[194:195], v[72:73], v[88:89] neg_lo:[0,1] neg_hi:[0,1]
	s_waitcnt lgkmcnt(1)
	v_pk_add_f32 v[68:69], v[164:165], v[172:173] neg_lo:[0,1] neg_hi:[0,1]
	v_pk_add_f32 v[88:89], v[166:167], v[154:155] neg_lo:[0,1] neg_hi:[0,1]
	;; [unrolled: 1-line block ×4, first 2 shown]
	v_pk_add_f32 v[98:99], v[68:69], v[88:89] op_sel:[0,1] op_sel_hi:[1,0]
	v_pk_add_f32 v[100:101], v[68:69], v[88:89] op_sel:[0,1] op_sel_hi:[1,0] neg_lo:[0,1] neg_hi:[0,1]
	v_pk_add_f32 v[180:181], v[70:71], v[86:87] neg_lo:[0,1] neg_hi:[0,1]
	s_waitcnt lgkmcnt(0)
	v_pk_add_f32 v[182:183], v[78:79], v[94:95] neg_lo:[0,1] neg_hi:[0,1]
	v_pk_add_f32 v[196:197], v[80:81], v[96:97] neg_lo:[0,1] neg_hi:[0,1]
	;; [unrolled: 1-line block ×4, first 2 shown]
	v_mov_b32_e32 v86, v98
	v_mov_b32_e32 v87, v101
	v_pk_add_f32 v[176:177], v[74:75], v[90:91] neg_lo:[0,1] neg_hi:[0,1]
	v_pk_fma_f32 v[90:91], v[68:69], 2.0, v[86:87] op_sel_hi:[1,0,1] neg_lo:[0,0,1] neg_hi:[0,0,1]
	v_pk_fma_f32 v[68:69], v[164:165], 2.0, v[68:69] op_sel_hi:[1,0,1] neg_lo:[0,0,1] neg_hi:[0,0,1]
	;; [unrolled: 1-line block ×5, first 2 shown]
	v_pk_add_f32 v[88:89], v[68:69], v[88:89] neg_lo:[0,1] neg_hi:[0,1]
	v_pk_add_f32 v[154:155], v[152:153], v[154:155] neg_lo:[0,1] neg_hi:[0,1]
	v_mov_b32_e32 v32, v97
	v_pk_add_f32 v[184:185], v[76:77], v[92:93] neg_lo:[0,1] neg_hi:[0,1]
	v_pk_fma_f32 v[92:93], v[68:69], 2.0, v[88:89] op_sel_hi:[1,0,1] neg_lo:[0,0,1] neg_hi:[0,0,1]
	v_pk_fma_f32 v[68:69], v[152:153], 2.0, v[154:155] op_sel_hi:[1,0,1] neg_lo:[0,0,1] neg_hi:[0,0,1]
	v_pk_add_f32 v[152:153], v[32:33], v[94:95]
	v_sub_f32_e32 v32, v95, v96
	v_fma_f32 v96, v94, 2.0, -v152
	v_fma_f32 v94, v95, 2.0, -v32
	s_mov_b32 s0, 0x3f3504f3
	v_mov_b32_e32 v95, v152
	v_pk_mul_f32 v[156:157], v[94:95], s[0:1] op_sel_hi:[1,0]
	v_mul_f32_e32 v96, 0x3f3504f3, v96
	v_mov_b32_e32 v97, v156
	v_mul_f32_e32 v153, 0x3f3504f3, v32
	v_pk_add_f32 v[164:165], v[90:91], v[96:97] neg_lo:[0,1] neg_hi:[0,1]
	v_mov_b32_e32 v152, v90
	v_mov_b32_e32 v97, v101
	v_pk_fma_f32 v[74:75], v[74:75], 2.0, v[176:177] op_sel_hi:[1,0,1] neg_lo:[0,0,1] neg_hi:[0,0,1]
	v_pk_fma_f32 v[82:83], v[82:83], 2.0, v[178:179] op_sel_hi:[1,0,1] neg_lo:[0,0,1] neg_hi:[0,0,1]
	;; [unrolled: 1-line block ×4, first 2 shown]
	v_pk_add_f32 v[166:167], v[90:91], v[96:97] neg_lo:[0,1] neg_hi:[0,1]
	v_pk_add_f32 v[100:101], v[152:153], v[100:101]
	v_mov_b32_e32 v32, v157
	v_pk_add_f32 v[82:83], v[74:75], v[82:83] neg_lo:[0,1] neg_hi:[0,1]
	v_pk_add_f32 v[78:79], v[70:71], v[78:79] neg_lo:[0,1] neg_hi:[0,1]
	v_mov_b32_e32 v169, v96
	v_pk_add_f32 v[96:97], v[32:33], v[98:99]
	v_pk_fma_f32 v[188:189], v[94:95], s[0:1], v[166:167] op_sel_hi:[1,0,1]
	v_pk_fma_f32 v[94:95], v[94:95], s[0:1], v[100:101] op_sel_hi:[1,0,1] neg_lo:[1,0,0] neg_hi:[1,0,0]
	v_pk_fma_f32 v[74:75], v[74:75], 2.0, v[82:83] op_sel_hi:[1,0,1] neg_lo:[0,0,1] neg_hi:[0,0,1]
	v_pk_fma_f32 v[70:71], v[70:71], 2.0, v[78:79] op_sel_hi:[1,0,1] neg_lo:[0,0,1] neg_hi:[0,0,1]
	v_mov_b32_e32 v168, v154
	v_mov_b32_e32 v154, v153
	;; [unrolled: 1-line block ×4, first 2 shown]
	v_pk_add_f32 v[94:95], v[74:75], v[70:71] neg_lo:[0,1] neg_hi:[0,1]
	v_pk_add_f32 v[186:187], v[154:155], v[96:97]
	v_pk_fma_f32 v[98:99], v[74:75], 2.0, v[94:95] op_sel_hi:[1,0,1] neg_lo:[0,0,1] neg_hi:[0,0,1]
	v_pk_add_f32 v[70:71], v[176:177], v[178:179] op_sel:[0,1] op_sel_hi:[1,0]
	v_pk_add_f32 v[74:75], v[176:177], v[178:179] op_sel:[0,1] op_sel_hi:[1,0] neg_lo:[0,1] neg_hi:[0,1]
	v_pk_add_f32 v[154:155], v[180:181], v[182:183] op_sel:[0,1] op_sel_hi:[1,0]
	v_pk_add_f32 v[96:97], v[180:181], v[182:183] op_sel:[0,1] op_sel_hi:[1,0] neg_lo:[0,1] neg_hi:[0,1]
	v_mov_b32_e32 v71, v75
	v_mov_b32_e32 v155, v97
	v_pk_fma_f32 v[74:75], v[176:177], 2.0, v[70:71] op_sel_hi:[1,0,1] neg_lo:[0,0,1] neg_hi:[0,0,1]
	v_pk_fma_f32 v[96:97], v[180:181], 2.0, v[154:155] op_sel_hi:[1,0,1] neg_lo:[0,0,1] neg_hi:[0,0,1]
	s_nop 0
	v_pk_mul_f32 v[100:101], v[96:97], s[0:1] op_sel_hi:[1,0]
	v_pk_fma_f32 v[152:153], v[96:97], s[0:1], v[74:75] op_sel_hi:[1,0,1] neg_lo:[1,0,0] neg_hi:[1,0,0]
	s_barrier
	v_pk_add_f32 v[96:97], v[152:153], v[100:101] op_sel:[0,1] op_sel_hi:[1,0]
	v_pk_add_f32 v[156:157], v[152:153], v[100:101] op_sel:[0,1] op_sel_hi:[1,0] neg_lo:[0,1] neg_hi:[0,1]
	s_nop 0
	v_mov_b32_e32 v97, v157
	v_pk_fma_f32 v[100:101], v[74:75], 2.0, v[96:97] op_sel_hi:[1,0,1] neg_lo:[0,0,1] neg_hi:[0,0,1]
	ds_write_b128 v133, v[98:101]
	v_pk_add_f32 v[98:99], v[82:83], v[78:79] op_sel:[0,1] op_sel_hi:[1,0]
	v_pk_add_f32 v[74:75], v[82:83], v[78:79] op_sel:[0,1] op_sel_hi:[1,0] neg_lo:[0,1] neg_hi:[0,1]
	v_pk_mul_f32 v[78:79], v[154:155], s[0:1] op_sel_hi:[1,0]
	v_mov_b32_e32 v99, v75
	v_pk_fma_f32 v[152:153], v[82:83], 2.0, v[98:99] op_sel_hi:[1,0,1] neg_lo:[0,0,1] neg_hi:[0,0,1]
	v_pk_fma_f32 v[82:83], v[154:155], s[0:1], v[70:71] op_sel_hi:[1,0,1]
	v_pk_fma_f32 v[74:75], v[84:85], 2.0, v[192:193] op_sel_hi:[1,0,1] neg_lo:[0,0,1] neg_hi:[0,0,1]
	v_pk_add_f32 v[100:101], v[82:83], v[78:79] op_sel:[0,1] op_sel_hi:[1,0]
	v_pk_add_f32 v[78:79], v[82:83], v[78:79] op_sel:[0,1] op_sel_hi:[1,0] neg_lo:[0,1] neg_hi:[0,1]
	v_pk_fma_f32 v[72:73], v[72:73], 2.0, v[194:195] op_sel_hi:[1,0,1] neg_lo:[0,0,1] neg_hi:[0,0,1]
	v_mov_b32_e32 v101, v79
	v_pk_fma_f32 v[154:155], v[70:71], 2.0, v[100:101] op_sel_hi:[1,0,1] neg_lo:[0,0,1] neg_hi:[0,0,1]
	v_pk_fma_f32 v[70:71], v[76:77], 2.0, v[184:185] op_sel_hi:[1,0,1] neg_lo:[0,0,1] neg_hi:[0,0,1]
	;; [unrolled: 1-line block ×3, first 2 shown]
	v_pk_add_f32 v[78:79], v[70:71], v[74:75] neg_lo:[0,1] neg_hi:[0,1]
	v_pk_add_f32 v[80:81], v[72:73], v[76:77] neg_lo:[0,1] neg_hi:[0,1]
	v_pk_fma_f32 v[74:75], v[70:71], 2.0, v[78:79] op_sel_hi:[1,0,1] neg_lo:[0,0,1] neg_hi:[0,0,1]
	v_pk_fma_f32 v[70:71], v[72:73], 2.0, v[80:81] op_sel_hi:[1,0,1] neg_lo:[0,0,1] neg_hi:[0,0,1]
	v_pk_add_f32 v[82:83], v[184:185], v[192:193] op_sel:[0,1] op_sel_hi:[1,0]
	v_pk_add_f32 v[72:73], v[184:185], v[192:193] op_sel:[0,1] op_sel_hi:[1,0] neg_lo:[0,1] neg_hi:[0,1]
	v_pk_add_f32 v[84:85], v[194:195], v[196:197] op_sel:[0,1] op_sel_hi:[1,0]
	v_mov_b32_e32 v83, v73
	v_pk_add_f32 v[72:73], v[194:195], v[196:197] op_sel:[0,1] op_sel_hi:[1,0] neg_lo:[0,1] neg_hi:[0,1]
	v_pk_fma_f32 v[76:77], v[184:185], 2.0, v[82:83] op_sel_hi:[1,0,1] neg_lo:[0,0,1] neg_hi:[0,0,1]
	v_mov_b32_e32 v85, v73
	v_pk_fma_f32 v[72:73], v[194:195], 2.0, v[84:85] op_sel_hi:[1,0,1] neg_lo:[0,0,1] neg_hi:[0,0,1]
	ds_write_b128 v133, v[152:155] offset:16
	ds_write_b128 v133, v[94:97] offset:32
	;; [unrolled: 1-line block ×3, first 2 shown]
	v_pk_mul_f32 v[94:95], v[72:73], s[0:1] op_sel_hi:[1,0]
	v_pk_fma_f32 v[96:97], v[72:73], s[0:1], v[76:77] op_sel_hi:[1,0,1] neg_lo:[1,0,0] neg_hi:[1,0,0]
	v_pk_add_f32 v[70:71], v[74:75], v[70:71] neg_lo:[0,1] neg_hi:[0,1]
	v_pk_add_f32 v[72:73], v[96:97], v[94:95] op_sel:[0,1] op_sel_hi:[1,0]
	v_pk_add_f32 v[94:95], v[96:97], v[94:95] op_sel:[0,1] op_sel_hi:[1,0] neg_lo:[0,1] neg_hi:[0,1]
	v_pk_fma_f32 v[74:75], v[74:75], 2.0, v[70:71] op_sel_hi:[1,0,1] neg_lo:[0,0,1] neg_hi:[0,0,1]
	v_mov_b32_e32 v73, v95
	v_pk_fma_f32 v[76:77], v[76:77], 2.0, v[72:73] op_sel_hi:[1,0,1] neg_lo:[0,0,1] neg_hi:[0,0,1]
	ds_write_b128 v174, v[74:77]
	v_pk_add_f32 v[74:75], v[78:79], v[80:81] op_sel:[0,1] op_sel_hi:[1,0]
	v_pk_add_f32 v[96:97], v[78:79], v[80:81] op_sel:[0,1] op_sel_hi:[1,0] neg_lo:[0,1] neg_hi:[0,1]
	v_pk_mul_f32 v[80:81], v[84:85], s[0:1] op_sel_hi:[1,0]
	v_pk_fma_f32 v[84:85], v[84:85], s[0:1], v[82:83] op_sel_hi:[1,0,1]
	v_mov_b32_e32 v164, v89
	v_pk_add_f32 v[76:77], v[84:85], v[80:81] op_sel:[0,1] op_sel_hi:[1,0]
	v_pk_add_f32 v[84:85], v[84:85], v[80:81] op_sel:[0,1] op_sel_hi:[1,0] neg_lo:[0,1] neg_hi:[0,1]
	v_mov_b32_e32 v75, v97
	v_mov_b32_e32 v77, v85
	v_pk_add_f32 v[68:69], v[92:93], v[68:69] neg_lo:[0,1] neg_hi:[0,1]
	v_pk_add_f32 v[190:191], v[164:165], v[168:169] neg_lo:[0,1] neg_hi:[0,1]
	v_pk_fma_f32 v[78:79], v[78:79], 2.0, v[74:75] op_sel_hi:[1,0,1] neg_lo:[0,0,1] neg_hi:[0,0,1]
	v_pk_fma_f32 v[80:81], v[82:83], 2.0, v[76:77] op_sel_hi:[1,0,1] neg_lo:[0,0,1] neg_hi:[0,0,1]
	ds_write_b128 v174, v[78:81] offset:16
	ds_write_b128 v174, v[70:73] offset:32
	;; [unrolled: 1-line block ×3, first 2 shown]
	s_and_saveexec_b64 s[0:1], s[6:7]
	s_cbranch_execz .LBB0_17
; %bb.16:
	v_mov_b32_e32 v72, v188
	v_mov_b32_e32 v73, v191
	v_pk_fma_f32 v[70:71], v[92:93], 2.0, v[68:69] op_sel_hi:[1,0,1] neg_lo:[0,0,1] neg_hi:[0,0,1]
	v_pk_fma_f32 v[72:73], v[90:91], 2.0, v[72:73] op_sel_hi:[1,0,1] neg_lo:[0,0,1] neg_hi:[0,0,1]
	ds_write_b128 v175, v[70:73]
	v_mov_b32_e32 v70, v187
	v_mov_b32_e32 v71, v190
	v_mov_b32_e32 v72, v186
	v_mov_b32_e32 v73, v189
	v_pk_fma_f32 v[70:71], v[88:89], 2.0, v[70:71] op_sel_hi:[1,0,1] neg_lo:[0,0,1] neg_hi:[0,0,1]
	v_pk_fma_f32 v[72:73], v[86:87], 2.0, v[72:73] op_sel_hi:[1,0,1] neg_lo:[0,0,1] neg_hi:[0,0,1]
	ds_write_b128 v175, v[70:73] offset:16
	v_mov_b32_e32 v70, v188
	v_mov_b32_e32 v71, v191
	ds_write_b128 v175, v[68:71] offset:32
	v_mov_b32_e32 v70, v187
	v_mov_b32_e32 v71, v190
	;; [unrolled: 1-line block ×4, first 2 shown]
	ds_write_b128 v175, v[70:73] offset:48
.LBB0_17:
	s_or_b64 exec, exec, s[0:1]
	v_add_u32_e32 v32, 0x2400, v104
	s_waitcnt lgkmcnt(0)
	s_barrier
	ds_read2_b64 v[98:101], v32 offset0:24 offset1:248
	v_add_u32_e32 v32, 0x4900, v104
	ds_read2_b64 v[94:97], v32 offset0:16 offset1:240
	v_add_u32_e32 v32, 0x6e00, v104
	;; [unrolled: 2-line block ×3, first 2 shown]
	ds_read2_b64 v[70:73], v32 offset1:224
	v_add_u32_e32 v32, 0x3200, v104
	ds_read2_b64 v[82:85], v32 offset0:24 offset1:248
	v_add_u32_e32 v32, 0x5700, v104
	ds_read2_b64 v[78:81], v32 offset0:16 offset1:240
	v_add_u32_e32 v32, 0x7c00, v104
	ds_read2_b64 v[86:89], v104 offset1:224
	ds_read2_b64 v[74:77], v32 offset0:8 offset1:232
	ds_read_b64 v[198:199], v104 offset:16576
	ds_read_b64 v[196:197], v104 offset:25984
	;; [unrolled: 1-line block ×4, first 2 shown]
	s_and_saveexec_b64 s[0:1], s[4:5]
	s_xor_b64 s[0:1], exec, s[0:1]
	s_or_saveexec_b64 s[0:1], s[0:1]
	v_mov_b32_e32 v32, v147
	v_mov_b32_e32 v204, v8
	;; [unrolled: 1-line block ×13, first 2 shown]
	s_xor_b64 exec, exec, s[0:1]
	s_cbranch_execz .LBB0_19
; %bb.18:
	ds_read_b64 v[190:191], v104 offset:18368
	ds_read_b64 v[152:153], v104 offset:27776
	;; [unrolled: 1-line block ×4, first 2 shown]
	s_waitcnt lgkmcnt(2)
	v_mov_b32_e32 v187, v152
	s_waitcnt lgkmcnt(1)
	v_mov_b32_e32 v186, v188
	v_mov_b32_e32 v188, v190
	;; [unrolled: 1-line block ×3, first 2 shown]
.LBB0_19:
	s_or_b64 exec, exec, s[0:1]
	s_waitcnt lgkmcnt(11)
	v_pk_mul_f32 v[220:221], v[210:211], v[98:99]
	s_waitcnt lgkmcnt(0)
	v_pk_fma_f32 v[222:223], v[204:205], v[98:99], v[220:221] op_sel:[0,0,1] op_sel_hi:[1,1,0]
	v_pk_fma_f32 v[98:99], v[204:205], v[98:99], v[220:221] op_sel:[0,0,1] op_sel_hi:[1,1,0] neg_lo:[0,0,1] neg_hi:[0,0,1]
	s_barrier
	v_mov_b32_e32 v223, v99
	v_pk_mul_f32 v[98:99], v[208:209], v[94:95]
	s_nop 0
	v_pk_fma_f32 v[220:221], v[202:203], v[94:95], v[98:99] op_sel:[0,0,1] op_sel_hi:[1,1,0]
	v_pk_fma_f32 v[94:95], v[202:203], v[94:95], v[98:99] op_sel:[0,0,1] op_sel_hi:[1,1,0] neg_lo:[0,0,1] neg_hi:[0,0,1]
	v_mov_b32_e32 v164, v56
	v_mov_b32_e32 v221, v95
	v_pk_mul_f32 v[94:95], v[206:207], v[90:91]
	v_mov_b32_e32 v165, v56
	v_pk_fma_f32 v[98:99], v[200:201], v[90:91], v[94:95] op_sel:[0,0,1] op_sel_hi:[1,1,0]
	v_pk_fma_f32 v[90:91], v[200:201], v[90:91], v[94:95] op_sel:[0,0,1] op_sel_hi:[1,1,0] neg_lo:[0,0,1] neg_hi:[0,0,1]
	v_mov_b32_e32 v56, v57
	v_mov_b32_e32 v99, v91
	v_pk_add_f32 v[90:91], v[86:87], v[220:221] neg_lo:[0,1] neg_hi:[0,1]
	v_pk_add_f32 v[94:95], v[222:223], v[98:99] neg_lo:[0,1] neg_hi:[0,1]
	v_pk_fma_f32 v[86:87], v[86:87], 2.0, v[90:91] op_sel_hi:[1,0,1] neg_lo:[0,0,1] neg_hi:[0,0,1]
	v_pk_fma_f32 v[98:99], v[222:223], 2.0, v[94:95] op_sel_hi:[1,0,1] neg_lo:[0,0,1] neg_hi:[0,0,1]
	v_pk_add_f32 v[220:221], v[90:91], v[94:95] op_sel:[0,1] op_sel_hi:[1,0]
	v_pk_add_f32 v[94:95], v[90:91], v[94:95] op_sel:[0,1] op_sel_hi:[1,0] neg_lo:[0,1] neg_hi:[0,1]
	v_pk_add_f32 v[98:99], v[86:87], v[98:99] neg_lo:[0,1] neg_hi:[0,1]
	v_mov_b32_e32 v221, v95
	v_pk_fma_f32 v[86:87], v[86:87], 2.0, v[98:99] op_sel_hi:[1,0,1] neg_lo:[0,0,1] neg_hi:[0,0,1]
	v_pk_fma_f32 v[90:91], v[90:91], 2.0, v[220:221] op_sel_hi:[1,0,1] neg_lo:[0,0,1] neg_hi:[0,0,1]
	ds_write2_b64 v212, v[86:87], v[90:91] offset1:8
	ds_write2_b64 v212, v[98:99], v[220:221] offset0:16 offset1:24
	v_pk_mul_f32 v[86:87], v[210:211], v[100:101]
	v_mov_b32_e32 v156, v58
	v_pk_fma_f32 v[90:91], v[204:205], v[100:101], v[86:87] op_sel:[0,0,1] op_sel_hi:[1,1,0]
	v_pk_fma_f32 v[86:87], v[204:205], v[100:101], v[86:87] op_sel:[0,0,1] op_sel_hi:[1,1,0] neg_lo:[0,0,1] neg_hi:[0,0,1]
	v_mov_b32_e32 v157, v58
	v_mov_b32_e32 v91, v87
	v_pk_mul_f32 v[86:87], v[208:209], v[96:97]
	v_mov_b32_e32 v58, v59
	v_pk_fma_f32 v[94:95], v[202:203], v[96:97], v[86:87] op_sel:[0,0,1] op_sel_hi:[1,1,0]
	v_pk_fma_f32 v[86:87], v[202:203], v[96:97], v[86:87] op_sel:[0,0,1] op_sel_hi:[1,1,0] neg_lo:[0,0,1] neg_hi:[0,0,1]
	v_mov_b32_e32 v154, v52
	v_mov_b32_e32 v95, v87
	v_pk_mul_f32 v[86:87], v[206:207], v[92:93]
	v_mov_b32_e32 v155, v52
	v_pk_fma_f32 v[96:97], v[200:201], v[92:93], v[86:87] op_sel:[0,0,1] op_sel_hi:[1,1,0]
	v_pk_fma_f32 v[86:87], v[200:201], v[92:93], v[86:87] op_sel:[0,0,1] op_sel_hi:[1,1,0] neg_lo:[0,0,1] neg_hi:[0,0,1]
	v_mov_b32_e32 v52, v53
	v_mov_b32_e32 v97, v87
	v_pk_add_f32 v[86:87], v[88:89], v[94:95] neg_lo:[0,1] neg_hi:[0,1]
	v_pk_add_f32 v[92:93], v[90:91], v[96:97] neg_lo:[0,1] neg_hi:[0,1]
	v_pk_fma_f32 v[88:89], v[88:89], 2.0, v[86:87] op_sel_hi:[1,0,1] neg_lo:[0,0,1] neg_hi:[0,0,1]
	v_pk_fma_f32 v[90:91], v[90:91], 2.0, v[92:93] op_sel_hi:[1,0,1] neg_lo:[0,0,1] neg_hi:[0,0,1]
	v_pk_add_f32 v[94:95], v[86:87], v[92:93] op_sel:[0,1] op_sel_hi:[1,0]
	v_pk_add_f32 v[92:93], v[86:87], v[92:93] op_sel:[0,1] op_sel_hi:[1,0] neg_lo:[0,1] neg_hi:[0,1]
	v_pk_add_f32 v[90:91], v[88:89], v[90:91] neg_lo:[0,1] neg_hi:[0,1]
	v_mov_b32_e32 v95, v93
	v_pk_fma_f32 v[88:89], v[88:89], 2.0, v[90:91] op_sel_hi:[1,0,1] neg_lo:[0,0,1] neg_hi:[0,0,1]
	v_pk_fma_f32 v[86:87], v[86:87], 2.0, v[94:95] op_sel_hi:[1,0,1] neg_lo:[0,0,1] neg_hi:[0,0,1]
	ds_write2_b64 v123, v[88:89], v[86:87] offset1:8
	ds_write2_b64 v123, v[90:91], v[94:95] offset0:16 offset1:24
	v_pk_mul_f32 v[86:87], v[210:211], v[82:83]
	v_mov_b32_e32 v152, v54
	v_pk_fma_f32 v[88:89], v[204:205], v[82:83], v[86:87] op_sel:[0,0,1] op_sel_hi:[1,1,0]
	v_pk_fma_f32 v[82:83], v[204:205], v[82:83], v[86:87] op_sel:[0,0,1] op_sel_hi:[1,1,0] neg_lo:[0,0,1] neg_hi:[0,0,1]
	v_mov_b32_e32 v153, v54
	v_mov_b32_e32 v89, v83
	v_pk_mul_f32 v[82:83], v[208:209], v[78:79]
	v_mov_b32_e32 v54, v55
	;; [unrolled: 30-line block ×4, first 2 shown]
	v_pk_fma_f32 v[74:75], v[202:203], v[196:197], v[70:71] op_sel:[0,0,1] op_sel_hi:[1,1,0]
	v_pk_fma_f32 v[70:71], v[202:203], v[196:197], v[70:71] op_sel:[0,0,1] op_sel_hi:[1,1,0] neg_lo:[0,0,1] neg_hi:[0,0,1]
	v_mov_b32_e32 v172, v40
	v_mov_b32_e32 v75, v71
	v_pk_mul_f32 v[70:71], v[206:207], v[194:195]
	v_mov_b32_e32 v173, v40
	v_pk_fma_f32 v[76:77], v[200:201], v[194:195], v[70:71] op_sel:[0,0,1] op_sel_hi:[1,1,0]
	v_pk_fma_f32 v[70:71], v[200:201], v[194:195], v[70:71] op_sel:[0,0,1] op_sel_hi:[1,1,0] neg_lo:[0,0,1] neg_hi:[0,0,1]
	v_mov_b32_e32 v40, v41
	v_mov_b32_e32 v77, v71
	v_pk_add_f32 v[70:71], v[192:193], v[74:75] neg_lo:[0,1] neg_hi:[0,1]
	v_pk_add_f32 v[76:77], v[72:73], v[76:77] neg_lo:[0,1] neg_hi:[0,1]
	v_pk_fma_f32 v[74:75], v[192:193], 2.0, v[70:71] op_sel_hi:[1,0,1] neg_lo:[0,0,1] neg_hi:[0,0,1]
	v_pk_fma_f32 v[72:73], v[72:73], 2.0, v[76:77] op_sel_hi:[1,0,1] neg_lo:[0,0,1] neg_hi:[0,0,1]
	v_pk_add_f32 v[78:79], v[70:71], v[76:77] op_sel:[0,1] op_sel_hi:[1,0]
	v_pk_add_f32 v[76:77], v[70:71], v[76:77] op_sel:[0,1] op_sel_hi:[1,0] neg_lo:[0,1] neg_hi:[0,1]
	v_pk_add_f32 v[72:73], v[74:75], v[72:73] neg_lo:[0,1] neg_hi:[0,1]
	v_mov_b32_e32 v79, v77
	v_mov_b32_e32 v170, v42
	;; [unrolled: 1-line block ×16, first 2 shown]
	v_pk_fma_f32 v[74:75], v[74:75], 2.0, v[72:73] op_sel_hi:[1,0,1] neg_lo:[0,0,1] neg_hi:[0,0,1]
	v_pk_fma_f32 v[70:71], v[70:71], 2.0, v[78:79] op_sel_hi:[1,0,1] neg_lo:[0,0,1] neg_hi:[0,0,1]
	ds_write2_b64 v215, v[74:75], v[70:71] offset1:8
	ds_write2_b64 v215, v[72:73], v[78:79] offset0:16 offset1:24
	s_and_saveexec_b64 s[0:1], s[2:3]
	s_cbranch_execz .LBB0_21
; %bb.20:
	s_movk_i32 s2, 0x13e0
	v_pk_mul_f32 v[70:71], v[10:11], v[190:191] op_sel_hi:[1,0]
	v_pk_mul_f32 v[72:73], v[8:9], v[190:191] op_sel:[0,1]
	v_and_or_b32 v76, v216, s2, v105
	v_pk_mul_f32 v[74:75], v[142:143], v[188:189] op_sel:[0,1]
	v_lshlrev_b32_e32 v78, 3, v76
	v_pk_fma_f32 v[76:77], v[10:11], v[186:187], v[70:71] op_sel:[0,1,1] op_sel_hi:[1,1,0]
	v_pk_fma_f32 v[10:11], v[10:11], v[186:187], v[70:71] op_sel:[0,1,1] op_sel_hi:[1,1,0] neg_lo:[1,0,0] neg_hi:[1,0,0]
	v_pk_fma_f32 v[70:71], v[8:9], v[188:189], v[72:73] op_sel:[0,0,1] op_sel_hi:[1,1,0]
	v_pk_fma_f32 v[8:9], v[8:9], v[188:189], v[72:73] op_sel:[0,0,1] op_sel_hi:[1,0,0] neg_lo:[1,0,0] neg_hi:[1,0,0]
	v_pk_fma_f32 v[72:73], v[142:143], v[186:187], v[74:75] op_sel:[0,0,1] op_sel_hi:[1,0,0] neg_lo:[1,0,0] neg_hi:[1,0,0]
	v_mov_b32_e32 v71, v9
	v_pk_fma_f32 v[8:9], v[142:143], v[186:187], v[74:75] op_sel:[0,0,1] op_sel_hi:[1,1,0]
	v_mov_b32_e32 v77, v11
	v_mov_b32_e32 v9, v73
	v_pk_add_f32 v[10:11], v[68:69], v[76:77] neg_lo:[0,1] neg_hi:[0,1]
	v_pk_add_f32 v[8:9], v[70:71], v[8:9] neg_lo:[0,1] neg_hi:[0,1]
	v_pk_fma_f32 v[68:69], v[68:69], 2.0, v[10:11] op_sel_hi:[1,0,1] neg_lo:[0,0,1] neg_hi:[0,0,1]
	v_pk_fma_f32 v[70:71], v[70:71], 2.0, v[8:9] op_sel_hi:[1,0,1] neg_lo:[0,0,1] neg_hi:[0,0,1]
	v_pk_add_f32 v[72:73], v[10:11], v[8:9] op_sel:[0,1] op_sel_hi:[1,0]
	v_pk_add_f32 v[8:9], v[10:11], v[8:9] op_sel:[0,1] op_sel_hi:[1,0] neg_lo:[0,1] neg_hi:[0,1]
	v_pk_add_f32 v[70:71], v[68:69], v[70:71] neg_lo:[0,1] neg_hi:[0,1]
	v_mov_b32_e32 v73, v9
	v_pk_fma_f32 v[68:69], v[68:69], 2.0, v[70:71] op_sel_hi:[1,0,1] neg_lo:[0,0,1] neg_hi:[0,0,1]
	v_pk_fma_f32 v[8:9], v[10:11], 2.0, v[72:73] op_sel_hi:[1,0,1] neg_lo:[0,0,1] neg_hi:[0,0,1]
	ds_write2_b64 v78, v[68:69], v[8:9] offset1:8
	ds_write2_b64 v78, v[70:71], v[72:73] offset0:16 offset1:24
.LBB0_21:
	s_or_b64 exec, exec, s[0:1]
	v_add_u32_e32 v91, 0xe00, v104
	v_add_u32_e32 v95, 0x2a00, v104
	;; [unrolled: 1-line block ×7, first 2 shown]
	s_waitcnt lgkmcnt(0)
	s_barrier
	ds_read2_b64 v[8:11], v91 offset1:224
	ds_read2_b64 v[186:189], v95 offset1:224
	;; [unrolled: 1-line block ×6, first 2 shown]
	v_add_u32_e32 v92, 0x5400, v104
	ds_read2_b64 v[76:79], v98 offset1:224
	ds_read2_b64 v[198:201], v92 offset1:224
	v_mov_b32_e32 v88, v13
	s_waitcnt lgkmcnt(7)
	v_pk_mul_f32 v[226:227], v[4:5], v[10:11] op_sel_hi:[1,0]
	s_waitcnt lgkmcnt(2)
	v_mul_f32_e32 v210, v12, v84
	s_waitcnt lgkmcnt(1)
	v_pk_mul_f32 v[142:143], v[88:89], v[78:79] op_sel:[0,1] op_sel_hi:[1,0]
	v_pk_mul_f32 v[88:89], v[12:13], v[78:79] op_sel:[0,1] op_sel_hi:[1,0]
	v_pk_mul_f32 v[100:101], v[12:13], v[78:79]
	v_mov_b32_e32 v88, v89
	v_pk_fma_f32 v[202:203], v[12:13], v[78:79], v[88:89] op_sel:[0,1,0] op_sel_hi:[1,0,1] neg_lo:[0,0,1] neg_hi:[0,0,1]
	v_mov_b32_e32 v78, v15
	s_waitcnt lgkmcnt(0)
	v_pk_mul_f32 v[206:207], v[78:79], v[198:199] op_sel:[0,1] op_sel_hi:[1,0]
	v_pk_mul_f32 v[78:79], v[14:15], v[198:199] op_sel:[0,1] op_sel_hi:[1,0]
	v_mul_f32_e32 v212, v13, v85
	v_mov_b32_e32 v78, v79
	v_pk_fma_f32 v[208:209], v[14:15], v[198:199], v[78:79] op_sel:[0,1,0] op_sel_hi:[1,0,1] neg_lo:[0,0,1] neg_hi:[0,0,1]
	v_mul_f32_e32 v78, v13, v84
	v_fma_f32 v214, v12, v85, -v78
	v_mul_f32_e32 v78, v15, v200
	v_mul_f32_e32 v84, v13, v87
	;; [unrolled: 1-line block ×3, first 2 shown]
	v_fma_f32 v224, v14, v201, -v78
	v_mul_f32_e32 v78, v12, v86
	v_fma_f32 v12, v12, v87, -v13
	v_mul_f32_e32 v86, v14, v190
	v_mul_f32_e32 v13, v15, v190
	v_mov_b32_e32 v190, v11
	v_pk_fma_f32 v[10:11], v[4:5], v[10:11], v[226:227] op_sel:[0,1,1] op_sel_hi:[1,1,0]
	v_pk_mul_f32 v[204:205], v[14:15], v[198:199]
	v_mul_f32_e32 v220, v14, v200
	v_mul_f32_e32 v88, v15, v191
	v_fma_f32 v14, v14, v191, -v13
	v_pk_fma_f32 v[190:191], v[4:5], v[190:191], v[226:227] op_sel:[0,0,1] op_sel_hi:[1,1,0] neg_lo:[0,0,1] neg_hi:[0,0,1]
	v_mov_b32_e32 v10, v187
	v_pk_mul_f32 v[226:227], v[6:7], v[186:187] op_sel_hi:[1,0]
	v_mov_b32_e32 v191, v11
	v_pk_fma_f32 v[10:11], v[6:7], v[10:11], v[226:227] op_sel:[0,0,1] op_sel_hi:[1,1,0] neg_lo:[0,0,1] neg_hi:[0,0,1]
	v_pk_fma_f32 v[186:187], v[6:7], v[186:187], v[226:227] op_sel:[0,1,1] op_sel_hi:[1,1,0]
	v_pk_mul_f32 v[226:227], v[0:1], v[192:193] op_sel_hi:[1,0]
	v_mov_b32_e32 v186, v193
	v_pk_fma_f32 v[192:193], v[0:1], v[192:193], v[226:227] op_sel:[0,1,1] op_sel_hi:[1,1,0]
	v_mov_b32_e32 v11, v187
	v_pk_fma_f32 v[186:187], v[0:1], v[186:187], v[226:227] op_sel:[0,0,1] op_sel_hi:[1,1,0] neg_lo:[0,0,1] neg_hi:[0,0,1]
	v_mov_b32_e32 v192, v195
	v_pk_mul_f32 v[226:227], v[2:3], v[194:195] op_sel_hi:[1,0]
	v_mov_b32_e32 v187, v193
	v_pk_fma_f32 v[192:193], v[2:3], v[192:193], v[226:227] op_sel:[0,0,1] op_sel_hi:[1,1,0] neg_lo:[0,0,1] neg_hi:[0,0,1]
	v_pk_fma_f32 v[194:195], v[2:3], v[194:195], v[226:227] op_sel:[0,1,1] op_sel_hi:[1,1,0]
	v_mov_b32_e32 v205, v190
	v_mov_b32_e32 v193, v195
	;; [unrolled: 1-line block ×5, first 2 shown]
	v_add_u32_e32 v96, 0x7000, v104
	v_pk_add_f32 v[194:195], v[190:191], v[192:193]
	v_pk_add_f32 v[226:227], v[190:191], v[192:193] neg_lo:[0,1] neg_hi:[0,1]
	v_pk_add_f32 v[228:229], v[10:11], v[186:187]
	v_pk_add_f32 v[230:231], v[10:11], v[186:187] neg_lo:[0,1] neg_hi:[0,1]
	v_pk_add_f32 v[190:191], v[204:205], v[206:207]
	v_pk_add_f32 v[10:11], v[100:101], v[142:143]
	ds_read2_b64 v[72:75], v96 offset1:224
	ds_read_b64 v[82:83], v104 offset:35840
	v_mul_f32_e32 v222, v15, v201
	ds_read2_b64 v[198:201], v104 offset1:224
	v_mov_b32_e32 v209, v190
	v_mov_b32_e32 v203, v10
	v_pk_add_f32 v[100:101], v[208:209], v[202:203] neg_lo:[0,1] neg_hi:[0,1]
	v_mov_b32_e32 v204, v229
	v_mov_b32_e32 v205, v202
	v_mov_b32_e32 v202, v195
	v_mov_b32_e32 v203, v208
	v_pk_add_f32 v[202:203], v[204:205], v[202:203]
	v_pk_add_f32 v[204:205], v[10:11], v[190:191]
	v_mov_b32_e32 v80, s12
	v_mov_b32_e32 v81, s13
	;; [unrolled: 1-line block ×6, first 2 shown]
	s_mov_b32 s12, 0x3f08b237
	v_mov_b32_e32 v190, v204
	v_mov_b32_e32 v206, v229
	;; [unrolled: 1-line block ×3, first 2 shown]
	s_mov_b32 s18, 0x3d64c772
	v_pk_add_f32 v[142:143], v[142:143], v[186:187] neg_lo:[0,1] neg_hi:[0,1]
	s_mov_b32 s13, 0xbeae86e6
	v_mov_b32_e32 v186, v226
	v_mov_b32_e32 v192, v100
	v_mov_b32_e32 v193, v231
	v_pk_add_f32 v[206:207], v[190:191], v[206:207] neg_lo:[0,1] neg_hi:[0,1]
	v_mov_b32_e32 v208, v195
	v_mov_b32_e32 v209, v203
	;; [unrolled: 1-line block ×3, first 2 shown]
	v_pk_add_f32 v[202:203], v[202:203], v[204:205]
	s_mov_b32 s19, 0x3f4a47b2
	v_pk_mul_f32 v[142:143], v[142:143], s[12:13]
	v_pk_add_f32 v[186:187], v[186:187], v[192:193] neg_lo:[0,1] neg_hi:[0,1]
	s_mov_b32 s14, s13
	s_mov_b32 s15, s12
	v_pk_add_f32 v[100:101], v[100:101], v[230:231]
	v_pk_add_f32 v[208:209], v[208:209], v[10:11] neg_lo:[0,1] neg_hi:[0,1]
	s_waitcnt lgkmcnt(0)
	v_pk_add_f32 v[198:199], v[198:199], v[202:203]
	s_mov_b32 s16, 0x3f955555
	v_pk_mul_f32 v[204:205], v[206:207], s[18:19]
	s_mov_b32 s20, s19
	s_mov_b32 s21, s18
	v_pk_mul_f32 v[192:193], v[186:187], s[14:15]
	v_pk_add_f32 v[100:101], v[100:101], v[226:227]
	s_mov_b32 s0, 0xbee1c552
	v_pk_mul_f32 v[206:207], v[208:209], s[20:21]
	v_pk_fma_f32 v[202:203], v[202:203], s[16:17], v[198:199] op_sel_hi:[1,0,1] neg_lo:[1,0,0] neg_hi:[1,0,0]
	v_pk_fma_f32 v[208:209], v[208:209], s[20:21], v[204:205]
	v_pk_fma_f32 v[186:187], v[186:187], s[14:15], v[142:143]
	v_pk_add_f32 v[208:209], v[208:209], v[202:203]
	v_pk_fma_f32 v[186:187], v[100:101], s[0:1], v[186:187] op_sel_hi:[1,0,1]
	v_mov_b32_e32 v10, v229
	v_pk_add_f32 v[232:233], v[208:209], v[186:187]
	v_pk_add_f32 v[186:187], v[208:209], v[186:187] neg_lo:[0,1] neg_hi:[0,1]
	v_mov_b32_e32 v208, v232
	v_mov_b32_e32 v209, v187
	;; [unrolled: 1-line block ×3, first 2 shown]
	s_barrier
	ds_write2_b64 v218, v[198:199], v[208:209] offset1:32
	v_pk_add_f32 v[198:199], v[230:231], v[226:227] neg_lo:[0,1] neg_hi:[0,1]
	s_mov_b32 s2, 0xbf5ff5aa
	v_pk_add_f32 v[10:11], v[10:11], v[190:191] neg_lo:[0,1] neg_hi:[0,1]
	s_mov_b32 s4, 0x3f3bfb3b
	v_mov_b32_e32 v190, v206
	v_mov_b32_e32 v191, v205
	;; [unrolled: 1-line block ×6, first 2 shown]
	v_pk_fma_f32 v[190:191], v[10:11], s[4:5], v[190:191] op_sel_hi:[1,0,1] neg_lo:[1,0,1] neg_hi:[1,0,1]
	v_pk_fma_f32 v[194:195], v[198:199], s[2:3], v[194:195] op_sel_hi:[1,0,1] neg_lo:[1,0,1] neg_hi:[1,0,1]
	;; [unrolled: 1-line block ×4, first 2 shown]
	v_pk_add_f32 v[190:191], v[190:191], v[202:203]
	v_pk_fma_f32 v[194:195], v[100:101], s[0:1], v[194:195] op_sel_hi:[1,0,1]
	v_pk_add_f32 v[10:11], v[10:11], v[202:203]
	v_pk_fma_f32 v[100:101], v[100:101], s[0:1], v[142:143] op_sel_hi:[1,0,1]
	v_pk_add_f32 v[208:209], v[190:191], v[194:195]
	v_pk_add_f32 v[190:191], v[190:191], v[194:195] neg_lo:[0,1] neg_hi:[0,1]
	v_pk_add_f32 v[142:143], v[10:11], v[100:101] neg_lo:[0,1] neg_hi:[0,1]
	v_pk_add_f32 v[10:11], v[10:11], v[100:101]
	v_mov_b32_e32 v194, v208
	v_mov_b32_e32 v195, v191
	;; [unrolled: 1-line block ×4, first 2 shown]
	ds_write2_b64 v218, v[194:195], v[100:101] offset0:64 offset1:96
	v_mov_b32_e32 v11, v143
	v_mov_b32_e32 v191, v209
	v_pk_mul_f32 v[100:101], v[4:5], v[68:69] op_sel_hi:[1,0]
	ds_write2_b64 v218, v[10:11], v[190:191] offset0:128 offset1:160
	v_mov_b32_e32 v10, v69
	v_pk_fma_f32 v[68:69], v[4:5], v[68:69], v[100:101] op_sel:[0,1,1] op_sel_hi:[1,1,0]
	v_pk_fma_f32 v[10:11], v[4:5], v[10:11], v[100:101] op_sel:[0,0,1] op_sel_hi:[1,1,0] neg_lo:[0,0,1] neg_hi:[0,0,1]
	v_mov_b32_e32 v68, v189
	v_pk_mul_f32 v[100:101], v[6:7], v[188:189] op_sel_hi:[1,0]
	v_mov_b32_e32 v11, v69
	v_pk_fma_f32 v[68:69], v[6:7], v[68:69], v[100:101] op_sel:[0,0,1] op_sel_hi:[1,1,0] neg_lo:[0,0,1] neg_hi:[0,0,1]
	v_pk_fma_f32 v[100:101], v[6:7], v[188:189], v[100:101] op_sel:[0,1,1] op_sel_hi:[1,1,0]
	v_pk_mul_f32 v[142:143], v[0:1], v[72:73] op_sel_hi:[1,0]
	v_mov_b32_e32 v100, v73
	v_pk_fma_f32 v[72:73], v[0:1], v[72:73], v[142:143] op_sel:[0,1,1] op_sel_hi:[1,1,0]
	v_mov_b32_e32 v69, v101
	v_pk_fma_f32 v[100:101], v[0:1], v[100:101], v[142:143] op_sel:[0,0,1] op_sel_hi:[1,1,0] neg_lo:[0,0,1] neg_hi:[0,0,1]
	v_mov_b32_e32 v72, v197
	v_pk_mul_f32 v[142:143], v[2:3], v[196:197] op_sel_hi:[1,0]
	v_mov_b32_e32 v101, v73
	v_pk_fma_f32 v[72:73], v[2:3], v[72:73], v[142:143] op_sel:[0,0,1] op_sel_hi:[1,1,0] neg_lo:[0,0,1] neg_hi:[0,0,1]
	v_pk_fma_f32 v[142:143], v[2:3], v[196:197], v[142:143] op_sel:[0,1,1] op_sel_hi:[1,1,0]
	v_mov_b32_e32 v187, v233
	v_mov_b32_e32 v73, v143
	;; [unrolled: 1-line block ×6, first 2 shown]
	ds_write_b64 v218, v[186:187] offset:1536
	v_pk_add_f32 v[142:143], v[10:11], v[72:73]
	v_pk_add_f32 v[186:187], v[10:11], v[72:73] neg_lo:[0,1] neg_hi:[0,1]
	v_pk_add_f32 v[188:189], v[68:69], v[100:101]
	v_pk_add_f32 v[190:191], v[68:69], v[100:101] neg_lo:[0,1] neg_hi:[0,1]
	v_pk_add_f32 v[10:11], v[220:221], v[222:223]
	v_pk_add_f32 v[68:69], v[210:211], v[212:213]
	v_mov_b32_e32 v225, v10
	v_mov_b32_e32 v215, v68
	v_pk_add_f32 v[72:73], v[224:225], v[214:215] neg_lo:[0,1] neg_hi:[0,1]
	v_mov_b32_e32 v196, v189
	v_mov_b32_e32 v197, v214
	;; [unrolled: 1-line block ×8, first 2 shown]
	v_pk_add_f32 v[196:197], v[196:197], v[198:199]
	v_pk_add_f32 v[198:199], v[68:69], v[10:11]
	v_pk_add_f32 v[100:101], v[100:101], v[192:193] neg_lo:[0,1] neg_hi:[0,1]
	v_mov_b32_e32 v192, v186
	v_mov_b32_e32 v194, v72
	;; [unrolled: 1-line block ×9, first 2 shown]
	v_pk_add_f32 v[192:193], v[192:193], v[194:195] neg_lo:[0,1] neg_hi:[0,1]
	v_pk_add_f32 v[202:203], v[10:11], v[202:203] neg_lo:[0,1] neg_hi:[0,1]
	;; [unrolled: 1-line block ×3, first 2 shown]
	v_pk_add_f32 v[196:197], v[196:197], v[198:199]
	v_pk_mul_f32 v[100:101], v[100:101], s[12:13]
	v_pk_mul_f32 v[194:195], v[192:193], s[14:15]
	v_pk_add_f32 v[72:73], v[72:73], v[190:191]
	v_pk_add_f32 v[198:199], v[200:201], v[196:197]
	v_pk_mul_f32 v[200:201], v[202:203], s[18:19]
	v_pk_mul_f32 v[202:203], v[204:205], s[20:21]
	v_mov_b32_e32 v68, v189
	v_mov_b32_e32 v10, v143
	v_pk_add_f32 v[72:73], v[72:73], v[186:187]
	v_pk_fma_f32 v[204:205], v[204:205], s[20:21], v[200:201]
	v_pk_fma_f32 v[192:193], v[192:193], s[14:15], v[100:101]
	v_pk_add_f32 v[186:187], v[190:191], v[186:187] neg_lo:[0,1] neg_hi:[0,1]
	v_pk_add_f32 v[10:11], v[68:69], v[10:11] neg_lo:[0,1] neg_hi:[0,1]
	v_mov_b32_e32 v68, v202
	v_mov_b32_e32 v69, v201
	;; [unrolled: 1-line block ×6, first 2 shown]
	v_pk_fma_f32 v[196:197], v[196:197], s[16:17], v[198:199] op_sel_hi:[1,0,1] neg_lo:[1,0,0] neg_hi:[1,0,0]
	v_pk_fma_f32 v[68:69], v[10:11], s[4:5], v[68:69] op_sel_hi:[1,0,1] neg_lo:[1,0,1] neg_hi:[1,0,1]
	v_pk_fma_f32 v[142:143], v[186:187], s[2:3], v[142:143] op_sel_hi:[1,0,1] neg_lo:[1,0,1] neg_hi:[1,0,1]
	v_pk_fma_f32 v[10:11], v[10:11], s[4:5], v[200:201] op_sel_hi:[1,0,1] neg_lo:[0,0,1] neg_hi:[0,0,1]
	v_pk_fma_f32 v[100:101], v[186:187], s[2:3], v[100:101] op_sel_hi:[1,0,1] neg_lo:[0,0,1] neg_hi:[0,0,1]
	v_pk_fma_f32 v[192:193], v[72:73], s[0:1], v[192:193] op_sel_hi:[1,0,1]
	v_pk_add_f32 v[68:69], v[68:69], v[196:197]
	v_pk_fma_f32 v[142:143], v[72:73], s[0:1], v[142:143] op_sel_hi:[1,0,1]
	v_pk_add_f32 v[10:11], v[10:11], v[196:197]
	;; [unrolled: 2-line block ×3, first 2 shown]
	v_pk_add_f32 v[68:69], v[68:69], v[142:143] neg_lo:[0,1] neg_hi:[0,1]
	v_pk_add_f32 v[100:101], v[10:11], v[72:73] neg_lo:[0,1] neg_hi:[0,1]
	v_pk_add_f32 v[10:11], v[10:11], v[72:73]
	v_mov_b32_e32 v143, v69
	v_mov_b32_e32 v73, v11
	;; [unrolled: 1-line block ×4, first 2 shown]
	ds_write2_b64 v219, v[10:11], v[68:69] offset0:128 offset1:160
	v_mov_b32_e32 v10, v71
	v_pk_mul_f32 v[68:69], v[4:5], v[70:71] op_sel_hi:[1,0]
	v_mov_b32_e32 v142, v188
	v_pk_fma_f32 v[10:11], v[4:5], v[10:11], v[68:69] op_sel:[0,0,1] op_sel_hi:[1,1,0] neg_lo:[0,0,1] neg_hi:[0,0,1]
	v_pk_fma_f32 v[4:5], v[4:5], v[70:71], v[68:69] op_sel:[0,1,1] op_sel_hi:[1,1,0]
	v_pk_mul_f32 v[68:69], v[6:7], v[76:77] op_sel_hi:[1,0]
	v_mov_b32_e32 v4, v77
	v_mov_b32_e32 v11, v5
	v_pk_fma_f32 v[4:5], v[6:7], v[4:5], v[68:69] op_sel:[0,0,1] op_sel_hi:[1,1,0] neg_lo:[0,0,1] neg_hi:[0,0,1]
	v_pk_fma_f32 v[6:7], v[6:7], v[76:77], v[68:69] op_sel:[0,1,1] op_sel_hi:[1,1,0]
	v_pk_mul_f32 v[68:69], v[0:1], v[74:75] op_sel_hi:[1,0]
	v_mov_b32_e32 v6, v75
	;; [unrolled: 5-line block ×3, first 2 shown]
	v_mov_b32_e32 v7, v1
	v_pk_fma_f32 v[0:1], v[2:3], v[0:1], v[68:69] op_sel:[0,0,1] op_sel_hi:[1,1,0] neg_lo:[0,0,1] neg_hi:[0,0,1]
	v_pk_fma_f32 v[2:3], v[2:3], v[82:83], v[68:69] op_sel:[0,1,1] op_sel_hi:[1,1,0]
	v_mov_b32_e32 v72, v100
	v_mov_b32_e32 v1, v3
	;; [unrolled: 1-line block ×6, first 2 shown]
	ds_write2_b64 v219, v[142:143], v[72:73] offset0:64 offset1:96
	v_pk_add_f32 v[2:3], v[10:11], v[0:1]
	v_pk_add_f32 v[68:69], v[10:11], v[0:1] neg_lo:[0,1] neg_hi:[0,1]
	v_pk_add_f32 v[70:71], v[4:5], v[6:7]
	v_pk_add_f32 v[72:73], v[4:5], v[6:7] neg_lo:[0,1] neg_hi:[0,1]
	v_pk_add_f32 v[0:1], v[86:87], v[88:89]
	v_pk_add_f32 v[4:5], v[78:79], v[84:85]
	v_mov_b32_e32 v15, v0
	v_mov_b32_e32 v13, v4
	v_pk_add_f32 v[6:7], v[14:15], v[12:13] neg_lo:[0,1] neg_hi:[0,1]
	v_mov_b32_e32 v78, v71
	v_mov_b32_e32 v79, v12
	;; [unrolled: 1-line block ×4, first 2 shown]
	v_pk_add_f32 v[12:13], v[78:79], v[12:13]
	v_pk_add_f32 v[14:15], v[4:5], v[0:1]
	v_mov_b32_e32 v10, v6
	v_mov_b32_e32 v11, v69
	;; [unrolled: 1-line block ×6, first 2 shown]
	v_pk_add_f32 v[10:11], v[10:11], v[74:75] neg_lo:[0,1] neg_hi:[0,1]
	v_mov_b32_e32 v74, v68
	v_mov_b32_e32 v76, v6
	v_mov_b32_e32 v77, v73
	v_pk_add_f32 v[78:79], v[0:1], v[78:79] neg_lo:[0,1] neg_hi:[0,1]
	v_mov_b32_e32 v82, v3
	v_mov_b32_e32 v83, v13
	;; [unrolled: 1-line block ×3, first 2 shown]
	v_pk_add_f32 v[12:13], v[12:13], v[14:15]
	v_pk_mul_f32 v[10:11], v[10:11], s[12:13]
	v_pk_add_f32 v[74:75], v[74:75], v[76:77] neg_lo:[0,1] neg_hi:[0,1]
	v_pk_add_f32 v[6:7], v[6:7], v[72:73]
	v_pk_add_f32 v[82:83], v[82:83], v[4:5] neg_lo:[0,1] neg_hi:[0,1]
	v_pk_add_f32 v[8:9], v[8:9], v[12:13]
	v_pk_mul_f32 v[14:15], v[78:79], s[18:19]
	v_pk_mul_f32 v[76:77], v[74:75], s[14:15]
	v_pk_add_f32 v[6:7], v[6:7], v[68:69]
	v_pk_mul_f32 v[78:79], v[82:83], s[20:21]
	v_pk_fma_f32 v[12:13], v[12:13], s[16:17], v[8:9] op_sel_hi:[1,0,1] neg_lo:[1,0,0] neg_hi:[1,0,0]
	v_pk_fma_f32 v[82:83], v[82:83], s[20:21], v[14:15]
	v_pk_fma_f32 v[74:75], v[74:75], s[14:15], v[10:11]
	v_pk_add_f32 v[204:205], v[204:205], v[196:197]
	v_pk_add_f32 v[82:83], v[82:83], v[12:13]
	v_pk_fma_f32 v[74:75], v[6:7], s[0:1], v[74:75] op_sel_hi:[1,0,1]
	v_pk_add_f32 v[206:207], v[204:205], v[192:193]
	v_pk_add_f32 v[192:193], v[204:205], v[192:193] neg_lo:[0,1] neg_hi:[0,1]
	v_pk_add_f32 v[84:85], v[82:83], v[74:75]
	v_pk_add_f32 v[74:75], v[82:83], v[74:75] neg_lo:[0,1] neg_hi:[0,1]
	v_mov_b32_e32 v204, v206
	v_mov_b32_e32 v205, v193
	;; [unrolled: 1-line block ×7, first 2 shown]
	ds_write2_b64 v219, v[198:199], v[204:205] offset1:32
	ds_write_b64 v219, v[192:193] offset:1536
	ds_write2_b64 v217, v[8:9], v[82:83] offset1:32
	v_pk_add_f32 v[8:9], v[72:73], v[68:69] neg_lo:[0,1] neg_hi:[0,1]
	v_pk_add_f32 v[0:1], v[4:5], v[0:1] neg_lo:[0,1] neg_hi:[0,1]
	v_mov_b32_e32 v2, v78
	v_mov_b32_e32 v3, v15
	;; [unrolled: 1-line block ×6, first 2 shown]
	v_pk_fma_f32 v[2:3], v[0:1], s[4:5], v[2:3] op_sel_hi:[1,0,1] neg_lo:[1,0,1] neg_hi:[1,0,1]
	v_pk_fma_f32 v[4:5], v[8:9], s[2:3], v[4:5] op_sel_hi:[1,0,1] neg_lo:[1,0,1] neg_hi:[1,0,1]
	;; [unrolled: 1-line block ×4, first 2 shown]
	v_pk_add_f32 v[2:3], v[2:3], v[12:13]
	v_pk_fma_f32 v[4:5], v[6:7], s[0:1], v[4:5] op_sel_hi:[1,0,1]
	v_pk_add_f32 v[0:1], v[0:1], v[12:13]
	v_pk_fma_f32 v[6:7], v[6:7], s[0:1], v[8:9] op_sel_hi:[1,0,1]
	v_pk_add_f32 v[68:69], v[2:3], v[4:5]
	v_pk_add_f32 v[2:3], v[2:3], v[4:5] neg_lo:[0,1] neg_hi:[0,1]
	v_pk_add_f32 v[8:9], v[0:1], v[6:7] neg_lo:[0,1] neg_hi:[0,1]
	v_pk_add_f32 v[0:1], v[0:1], v[6:7]
	v_mov_b32_e32 v4, v68
	v_mov_b32_e32 v5, v3
	;; [unrolled: 1-line block ×7, first 2 shown]
	ds_write2_b64 v217, v[4:5], v[6:7] offset0:64 offset1:96
	ds_write2_b64 v217, v[0:1], v[2:3] offset0:128 offset1:160
	ds_write_b64 v217, v[74:75] offset:1536
	s_waitcnt lgkmcnt(0)
	s_barrier
	ds_read2_b64 v[0:3], v91 offset1:224
	ds_read2_b64 v[186:189], v95 offset1:224
	;; [unrolled: 1-line block ×9, first 2 shown]
	v_mov_b32_e32 v76, v33
	s_waitcnt lgkmcnt(4)
	v_pk_mul_f32 v[142:143], v[76:77], v[74:75] op_sel:[0,1] op_sel_hi:[1,0]
	v_pk_mul_f32 v[76:77], v[32:33], v[74:75] op_sel:[0,1] op_sel_hi:[1,0]
	v_pk_mul_f32 v[100:101], v[32:33], v[74:75]
	v_mov_b32_e32 v76, v77
	v_pk_fma_f32 v[202:203], v[32:33], v[74:75], v[76:77] op_sel:[0,1,0] op_sel_hi:[1,0,1] neg_lo:[0,0,1] neg_hi:[0,0,1]
	v_mov_b32_e32 v74, v35
	s_waitcnt lgkmcnt(1)
	v_pk_mul_f32 v[206:207], v[74:75], v[194:195] op_sel:[0,1] op_sel_hi:[1,0]
	v_pk_mul_f32 v[74:75], v[34:35], v[194:195] op_sel:[0,1] op_sel_hi:[1,0]
	ds_read_b64 v[82:83], v104 offset:35840
	v_mov_b32_e32 v74, v75
	v_pk_mul_f32 v[204:205], v[34:35], v[194:195]
	v_pk_fma_f32 v[194:195], v[34:35], v[194:195], v[74:75] op_sel:[0,1,0] op_sel_hi:[1,0,1] neg_lo:[0,0,1] neg_hi:[0,0,1]
	v_mul_f32_e32 v74, v37, v12
	v_fma_f32 v208, v36, v13, -v74
	v_mul_f32_e32 v74, v31, v192
	v_fma_f32 v214, v30, v193, -v74
	v_pk_mul_f32 v[74:75], v[26:27], v[72:73]
	s_waitcnt lgkmcnt(1)
	v_mul_f32_e32 v77, v20, v10
	v_mul_f32_e32 v21, v21, v11
	v_mov_b32_e32 v76, v74
	v_mov_b32_e32 v20, v75
	v_pk_mul_f32 v[24:25], v[24:25], v[14:15] op_sel:[0,1] op_sel_hi:[1,0]
	v_pk_add_f32 v[78:79], v[76:77], v[20:21]
	s_waitcnt lgkmcnt(0)
	v_pk_mul_f32 v[20:21], v[22:23], v[82:83] op_sel:[0,1] op_sel_hi:[1,0]
	v_mov_b32_e32 v74, v24
	v_mov_b32_e32 v75, v20
	;; [unrolled: 1-line block ×3, first 2 shown]
	v_pk_add_f32 v[84:85], v[74:75], v[20:21] neg_lo:[0,1] neg_hi:[0,1]
	v_mov_b32_e32 v88, v15
	v_mov_b32_e32 v15, v84
	v_pk_add_f32 v[20:21], v[14:15], v[84:85]
	v_pk_mul_f32 v[216:217], v[36:37], v[2:3] op_sel_hi:[1,0]
	v_mov_b32_e32 v20, v79
	v_pk_add_f32 v[24:25], v[78:79], v[20:21]
	v_mov_b32_e32 v20, v3
	v_pk_fma_f32 v[2:3], v[36:37], v[2:3], v[216:217] op_sel:[0,1,1] op_sel_hi:[1,1,0]
	v_pk_fma_f32 v[218:219], v[36:37], v[20:21], v[216:217] op_sel:[0,0,1] op_sel_hi:[1,1,0] neg_lo:[0,0,1] neg_hi:[0,0,1]
	v_mov_b32_e32 v2, v187
	v_pk_mul_f32 v[216:217], v[38:39], v[186:187] op_sel_hi:[1,0]
	v_mov_b32_e32 v219, v3
	v_pk_fma_f32 v[2:3], v[38:39], v[2:3], v[216:217] op_sel:[0,0,1] op_sel_hi:[1,1,0] neg_lo:[0,0,1] neg_hi:[0,0,1]
	v_pk_fma_f32 v[186:187], v[38:39], v[186:187], v[216:217] op_sel:[0,1,1] op_sel_hi:[1,1,0]
	v_mov_b32_e32 v20, v7
	v_mov_b32_e32 v3, v187
	v_pk_mul_f32 v[186:187], v[28:29], v[6:7] op_sel_hi:[1,0]
	v_mov_b32_e32 v205, v218
	v_pk_fma_f32 v[6:7], v[28:29], v[6:7], v[186:187] op_sel:[0,1,1] op_sel_hi:[1,1,0]
	v_pk_fma_f32 v[216:217], v[28:29], v[20:21], v[186:187] op_sel:[0,0,1] op_sel_hi:[1,1,0] neg_lo:[0,0,1] neg_hi:[0,0,1]
	v_mov_b32_e32 v6, v191
	v_pk_mul_f32 v[186:187], v[30:31], v[190:191] op_sel_hi:[1,0]
	v_mov_b32_e32 v217, v7
	v_pk_fma_f32 v[6:7], v[30:31], v[6:7], v[186:187] op_sel:[0,0,1] op_sel_hi:[1,1,0] neg_lo:[0,0,1] neg_hi:[0,0,1]
	v_pk_fma_f32 v[186:187], v[30:31], v[190:191], v[186:187] op_sel:[0,1,1] op_sel_hi:[1,1,0]
	v_mov_b32_e32 v207, v6
	v_mov_b32_e32 v7, v187
	;; [unrolled: 1-line block ×4, first 2 shown]
	v_pk_add_f32 v[186:187], v[218:219], v[6:7]
	v_pk_add_f32 v[190:191], v[218:219], v[6:7] neg_lo:[0,1] neg_hi:[0,1]
	v_pk_add_f32 v[220:221], v[2:3], v[216:217]
	v_pk_add_f32 v[222:223], v[2:3], v[216:217] neg_lo:[0,1] neg_hi:[0,1]
	v_pk_add_f32 v[6:7], v[204:205], v[206:207]
	v_pk_add_f32 v[2:3], v[100:101], v[142:143]
	v_mov_b32_e32 v195, v6
	v_mov_b32_e32 v203, v2
	ds_read2_b64 v[198:201], v104 offset1:224
	v_pk_add_f32 v[100:101], v[194:195], v[202:203] neg_lo:[0,1] neg_hi:[0,1]
	v_mov_b32_e32 v216, v221
	v_mov_b32_e32 v217, v202
	;; [unrolled: 1-line block ×8, first 2 shown]
	v_pk_add_f32 v[194:195], v[216:217], v[202:203]
	v_pk_add_f32 v[202:203], v[2:3], v[6:7]
	v_pk_add_f32 v[142:143], v[142:143], v[204:205] neg_lo:[0,1] neg_hi:[0,1]
	v_mov_b32_e32 v204, v190
	v_mov_b32_e32 v206, v100
	;; [unrolled: 1-line block ×8, first 2 shown]
	v_pk_add_f32 v[204:205], v[204:205], v[206:207] neg_lo:[0,1] neg_hi:[0,1]
	v_pk_add_f32 v[216:217], v[6:7], v[216:217] neg_lo:[0,1] neg_hi:[0,1]
	;; [unrolled: 1-line block ×3, first 2 shown]
	v_pk_mul_f32 v[142:143], v[142:143], s[12:13]
	v_pk_mul_f32 v[206:207], v[204:205], s[14:15]
	v_pk_add_f32 v[100:101], v[100:101], v[222:223]
	v_pk_add_f32 v[194:195], v[194:195], v[202:203]
	v_pk_mul_f32 v[202:203], v[216:217], s[18:19]
	v_pk_mul_f32 v[216:217], v[218:219], s[20:21]
	v_mov_b32_e32 v2, v221
	v_mov_b32_e32 v6, v187
	v_pk_add_f32 v[100:101], v[100:101], v[190:191]
	s_waitcnt lgkmcnt(0)
	v_pk_add_f32 v[198:199], v[198:199], v[194:195]
	v_pk_fma_f32 v[218:219], v[218:219], s[20:21], v[202:203]
	v_pk_fma_f32 v[204:205], v[204:205], s[14:15], v[142:143]
	v_pk_add_f32 v[190:191], v[222:223], v[190:191] neg_lo:[0,1] neg_hi:[0,1]
	v_pk_add_f32 v[2:3], v[2:3], v[6:7] neg_lo:[0,1] neg_hi:[0,1]
	v_mov_b32_e32 v6, v216
	v_mov_b32_e32 v7, v203
	;; [unrolled: 1-line block ×6, first 2 shown]
	v_pk_fma_f32 v[194:195], v[194:195], s[16:17], v[198:199] op_sel_hi:[1,0,1] neg_lo:[1,0,0] neg_hi:[1,0,0]
	v_pk_fma_f32 v[6:7], v[2:3], s[4:5], v[6:7] op_sel_hi:[1,0,1] neg_lo:[1,0,1] neg_hi:[1,0,1]
	;; [unrolled: 1-line block ×5, first 2 shown]
	v_mul_f32_e32 v211, v39, v189
	v_pk_fma_f32 v[204:205], v[100:101], s[0:1], v[204:205] op_sel_hi:[1,0,1]
	v_pk_fma_f32 v[186:187], v[100:101], s[0:1], v[186:187] op_sel_hi:[1,0,1]
	v_pk_add_f32 v[2:3], v[2:3], v[194:195]
	v_pk_fma_f32 v[100:101], v[100:101], s[0:1], v[142:143] op_sel_hi:[1,0,1]
	v_fmac_f32_e32 v211, v38, v188
	v_pk_add_f32 v[218:219], v[218:219], v[194:195]
	v_pk_add_f32 v[6:7], v[6:7], v[194:195]
	v_pk_add_f32 v[142:143], v[2:3], v[100:101] neg_lo:[0,1] neg_hi:[0,1]
	v_pk_add_f32 v[2:3], v[2:3], v[100:101]
	v_mov_b32_e32 v101, v38
	v_mov_b32_e32 v38, v33
	v_mov_b32_e32 v190, v69
	v_mov_b32_e32 v191, v188
	v_pk_add_f32 v[224:225], v[218:219], v[204:205]
	v_pk_add_f32 v[204:205], v[218:219], v[204:205] neg_lo:[0,1] neg_hi:[0,1]
	v_pk_add_f32 v[218:219], v[6:7], v[186:187]
	v_pk_add_f32 v[6:7], v[6:7], v[186:187] neg_lo:[0,1] neg_hi:[0,1]
	v_mov_b32_e32 v100, v32
	v_mov_b32_e32 v186, v68
	;; [unrolled: 1-line block ×3, first 2 shown]
	v_pk_mul_f32 v[38:39], v[38:39], v[190:191]
	v_mul_f32_e32 v213, v29, v9
	v_pk_fma_f32 v[188:189], v[32:33], v[68:69], v[38:39]
	v_pk_fma_f32 v[38:39], v[100:101], v[186:187], v[38:39] neg_lo:[0,0,1] neg_hi:[0,0,1]
	v_mov_b32_e32 v100, v12
	v_mov_b32_e32 v32, v37
	;; [unrolled: 1-line block ×5, first 2 shown]
	v_pk_mul_f32 v[12:13], v[32:33], v[12:13]
	v_fmac_f32_e32 v213, v28, v8
	v_pk_fma_f32 v[32:33], v[146:147], v[100:101], v[12:13]
	v_pk_fma_f32 v[12:13], v[146:147], v[100:101], v[12:13] neg_lo:[0,0,1] neg_hi:[0,0,1]
	v_mov_b32_e32 v37, v28
	v_mov_b32_e32 v28, v35
	;; [unrolled: 1-line block ×5, first 2 shown]
	v_pk_mul_f32 v[8:9], v[28:29], v[100:101]
	v_mov_b32_e32 v36, v34
	v_mov_b32_e32 v68, v196
	v_pk_fma_f32 v[28:29], v[34:35], v[196:197], v[8:9]
	v_mov_b32_e32 v34, v31
	v_mov_b32_e32 v30, v193
	;; [unrolled: 1-line block ×3, first 2 shown]
	v_pk_fma_f32 v[8:9], v[36:37], v[68:69], v[8:9] neg_lo:[0,0,1] neg_hi:[0,0,1]
	v_mov_b32_e32 v36, v192
	v_mov_b32_e32 v37, v197
	v_pk_mul_f32 v[30:31], v[34:35], v[30:31]
	v_mov_b32_e32 v189, v39
	v_pk_fma_f32 v[34:35], v[158:159], v[36:37], v[30:31]
	v_pk_fma_f32 v[30:31], v[158:159], v[36:37], v[30:31] neg_lo:[0,0,1] neg_hi:[0,0,1]
	v_mov_b32_e32 v33, v13
	v_mov_b32_e32 v29, v9
	;; [unrolled: 1-line block ×3, first 2 shown]
	v_add_f32_e32 v75, v208, v214
	v_add_f32_e32 v76, v211, v213
	v_mov_b32_e32 v209, v32
	v_mov_b32_e32 v215, v34
	;; [unrolled: 1-line block ×4, first 2 shown]
	v_pk_add_f32 v[38:39], v[188:189], v[28:29]
	v_pk_add_f32 v[32:33], v[32:33], v[34:35]
	v_mov_b32_e32 v30, v31
	v_mov_b32_e32 v31, v28
	;; [unrolled: 1-line block ×4, first 2 shown]
	v_pk_add_f32 v[36:37], v[208:209], v[214:215] neg_lo:[0,1] neg_hi:[0,1]
	v_pk_add_f32 v[8:9], v[210:211], v[212:213] neg_lo:[0,1] neg_hi:[0,1]
	;; [unrolled: 1-line block ×3, first 2 shown]
	v_mov_b32_e32 v77, v39
	v_mov_b32_e32 v74, v32
	;; [unrolled: 1-line block ×6, first 2 shown]
	v_pk_add_f32 v[28:29], v[76:77], v[74:75]
	v_pk_add_f32 v[30:31], v[30:31], v[34:35] neg_lo:[0,1] neg_hi:[0,1]
	v_pk_add_f32 v[34:35], v[32:33], v[38:39] neg_lo:[0,1] neg_hi:[0,1]
	v_mov_b32_e32 v100, v12
	v_mov_b32_e32 v101, v37
	;; [unrolled: 1-line block ×5, first 2 shown]
	v_pk_add_f32 v[68:69], v[12:13], v[8:9]
	v_pk_add_f32 v[100:101], v[100:101], v[146:147] neg_lo:[0,1] neg_hi:[0,1]
	v_mov_b32_e32 v146, v36
	v_mov_b32_e32 v13, v9
	v_pk_add_f32 v[28:29], v[38:39], v[28:29]
	v_pk_add_f32 v[12:13], v[146:147], v[12:13] neg_lo:[0,1] neg_hi:[0,1]
	v_pk_add_f32 v[38:39], v[200:201], v[28:29]
	v_pk_mul_f32 v[30:31], v[30:31], s[18:19]
	v_pk_mul_f32 v[100:101], v[100:101], s[12:13]
	v_pk_add_f32 v[32:33], v[68:69], v[36:37]
	v_pk_mul_f32 v[68:69], v[34:35], s[20:21]
	v_pk_mul_f32 v[146:147], v[12:13], s[14:15]
	v_pk_fma_f32 v[28:29], v[28:29], s[16:17], v[38:39] op_sel_hi:[1,0,1] neg_lo:[1,0,0] neg_hi:[1,0,0]
	v_pk_fma_f32 v[34:35], v[34:35], s[20:21], v[30:31]
	v_pk_fma_f32 v[12:13], v[12:13], s[14:15], v[100:101]
	v_pk_add_f32 v[34:35], v[34:35], v[28:29]
	v_pk_fma_f32 v[12:13], v[32:33], s[0:1], v[12:13] op_sel_hi:[1,0,1]
	v_mov_b32_e32 v186, v71
	v_mov_b32_e32 v187, v72
	;; [unrolled: 1-line block ×4, first 2 shown]
	v_pk_add_f32 v[158:159], v[34:35], v[12:13]
	v_pk_add_f32 v[12:13], v[34:35], v[12:13] neg_lo:[0,1] neg_hi:[0,1]
	v_mov_b32_e32 v20, v145
	v_mov_b32_e32 v34, v145
	;; [unrolled: 1-line block ×5, first 2 shown]
	v_pk_mul_f32 v[72:73], v[148:149], v[186:187]
	v_mov_b32_e32 v15, v71
	v_pk_mul_f32 v[16:17], v[16:17], v[88:89]
	v_mov_b32_e32 v70, v4
	v_mov_b32_e32 v71, v10
	;; [unrolled: 1-line block ×4, first 2 shown]
	v_pk_fma_f32 v[148:149], v[20:21], v[26:27], v[72:73]
	v_pk_fma_f32 v[26:27], v[34:35], v[26:27], v[72:73] neg_lo:[0,0,1] neg_hi:[0,0,1]
	v_pk_fma_f32 v[34:35], v[144:145], v[14:15], v[16:17]
	v_pk_fma_f32 v[14:15], v[144:145], v[14:15], v[16:17] neg_lo:[0,0,1] neg_hi:[0,0,1]
	v_mov_b32_e32 v16, v5
	v_mov_b32_e32 v17, v11
	v_pk_mul_f32 v[10:11], v[160:161], v[70:71]
	v_mov_b32_e32 v23, v18
	v_mov_b32_e32 v83, v5
	v_pk_mul_f32 v[4:5], v[162:163], v[86:87]
	v_pk_fma_f32 v[70:71], v[150:151], v[16:17], v[10:11]
	v_pk_fma_f32 v[10:11], v[150:151], v[16:17], v[10:11] neg_lo:[0,0,1] neg_hi:[0,0,1]
	v_pk_fma_f32 v[16:17], v[22:23], v[82:83], v[4:5]
	v_pk_fma_f32 v[4:5], v[22:23], v[82:83], v[4:5] neg_lo:[0,0,1] neg_hi:[0,0,1]
	v_mov_b32_e32 v149, v27
	v_mov_b32_e32 v35, v15
	;; [unrolled: 1-line block ×11, first 2 shown]
	v_pk_add_f32 v[10:11], v[26:27], v[78:79] neg_lo:[0,1] neg_hi:[0,1]
	v_pk_add_f32 v[26:27], v[148:149], v[70:71]
	v_pk_add_f32 v[16:17], v[34:35], v[16:17]
	v_mov_b32_e32 v4, v5
	v_mov_b32_e32 v5, v70
	;; [unrolled: 1-line block ×4, first 2 shown]
	v_pk_add_f32 v[22:23], v[22:23], v[72:73] neg_lo:[0,1] neg_hi:[0,1]
	v_pk_add_f32 v[4:5], v[4:5], v[14:15] neg_lo:[0,1] neg_hi:[0,1]
	v_mov_b32_e32 v25, v27
	v_mov_b32_e32 v20, v16
	;; [unrolled: 1-line block ×6, first 2 shown]
	v_pk_add_f32 v[14:15], v[24:25], v[20:21]
	v_pk_add_f32 v[34:35], v[34:35], v[70:71] neg_lo:[0,1] neg_hi:[0,1]
	v_pk_add_f32 v[70:71], v[16:17], v[26:27] neg_lo:[0,1] neg_hi:[0,1]
	v_mov_b32_e32 v78, v4
	v_mov_b32_e32 v79, v23
	;; [unrolled: 1-line block ×5, first 2 shown]
	v_pk_add_f32 v[72:73], v[4:5], v[10:11]
	v_pk_add_f32 v[78:79], v[78:79], v[82:83] neg_lo:[0,1] neg_hi:[0,1]
	v_mov_b32_e32 v82, v22
	v_mov_b32_e32 v5, v11
	v_pk_add_f32 v[14:15], v[26:27], v[14:15]
	v_pk_add_f32 v[4:5], v[82:83], v[4:5] neg_lo:[0,1] neg_hi:[0,1]
	v_pk_add_f32 v[0:1], v[0:1], v[14:15]
	v_pk_mul_f32 v[26:27], v[34:35], s[18:19]
	v_pk_mul_f32 v[78:79], v[78:79], s[12:13]
	v_pk_add_f32 v[16:17], v[72:73], v[22:23]
	v_pk_mul_f32 v[34:35], v[70:71], s[20:21]
	v_pk_mul_f32 v[72:73], v[4:5], s[14:15]
	v_pk_fma_f32 v[14:15], v[14:15], s[16:17], v[0:1] op_sel_hi:[1,0,1] neg_lo:[1,0,0] neg_hi:[1,0,0]
	v_pk_fma_f32 v[70:71], v[70:71], s[20:21], v[26:27]
	v_pk_fma_f32 v[4:5], v[4:5], s[14:15], v[78:79]
	v_pk_add_f32 v[70:71], v[70:71], v[14:15]
	v_pk_fma_f32 v[4:5], v[16:17], s[0:1], v[4:5] op_sel_hi:[1,0,1]
	s_nop 0
	v_pk_add_f32 v[82:83], v[70:71], v[4:5] neg_lo:[0,1] neg_hi:[0,1]
	v_pk_add_f32 v[4:5], v[70:71], v[4:5]
	v_mov_b32_e32 v70, v224
	v_mov_b32_e32 v71, v205
	s_barrier
	ds_write2_b64 v104, v[198:199], v[70:71] offset1:224
	v_mov_b32_e32 v71, v7
	v_mov_b32_e32 v85, v3
	;; [unrolled: 1-line block ×5, first 2 shown]
	ds_write2_b64 v90, v[2:3], v[6:7] offset1:224
	ds_write2_b64 v95, v[204:205], v[38:39] offset1:224
	v_pk_add_f32 v[6:7], v[76:77], v[74:75] neg_lo:[0,1] neg_hi:[0,1]
	v_pk_add_f32 v[8:9], v[8:9], v[36:37] neg_lo:[0,1] neg_hi:[0,1]
	v_mov_b32_e32 v36, v68
	v_mov_b32_e32 v37, v31
	;; [unrolled: 1-line block ×4, first 2 shown]
	v_pk_fma_f32 v[36:37], v[6:7], s[4:5], v[36:37] op_sel_hi:[1,0,1] neg_lo:[1,0,1] neg_hi:[1,0,1]
	v_pk_fma_f32 v[38:39], v[8:9], s[2:3], v[38:39] op_sel_hi:[1,0,1] neg_lo:[1,0,1] neg_hi:[1,0,1]
	v_mov_b32_e32 v70, v218
	v_mov_b32_e32 v84, v142
	v_pk_add_f32 v[36:37], v[36:37], v[28:29]
	v_pk_fma_f32 v[38:39], v[32:33], s[0:1], v[38:39] op_sel_hi:[1,0,1]
	ds_write2_b64 v91, v[70:71], v[84:85] offset1:224
	v_pk_add_f32 v[70:71], v[36:37], v[38:39] neg_lo:[0,1] neg_hi:[0,1]
	v_pk_add_f32 v[36:37], v[36:37], v[38:39]
	v_mov_b32_e32 v2, v158
	v_mov_b32_e32 v3, v13
	;; [unrolled: 1-line block ×6, first 2 shown]
	ds_write2_b64 v98, v[2:3], v[38:39] offset1:224
	v_pk_fma_f32 v[2:3], v[6:7], s[4:5], v[30:31] op_sel_hi:[1,0,1] neg_lo:[0,0,1] neg_hi:[0,0,1]
	v_pk_fma_f32 v[6:7], v[8:9], s[2:3], v[100:101] op_sel_hi:[1,0,1] neg_lo:[0,0,1] neg_hi:[0,0,1]
	v_pk_add_f32 v[2:3], v[2:3], v[28:29]
	v_pk_fma_f32 v[6:7], v[32:33], s[0:1], v[6:7] op_sel_hi:[1,0,1]
	v_mov_b32_e32 v71, v37
	v_pk_add_f32 v[8:9], v[2:3], v[6:7]
	v_pk_add_f32 v[2:3], v[2:3], v[6:7] neg_lo:[0,1] neg_hi:[0,1]
	v_mov_b32_e32 v7, v9
	v_mov_b32_e32 v6, v2
	;; [unrolled: 1-line block ×6, first 2 shown]
	v_add_u32_e32 v4, 0x6200, v19
	ds_write2_b64 v94, v[6:7], v[8:9] offset1:224
	ds_write2_b64 v92, v[70:71], v[12:13] offset1:224
	ds_write2_b64 v4, v[0:1], v[2:3] offset1:224
	v_pk_add_f32 v[0:1], v[24:25], v[20:21] neg_lo:[0,1] neg_hi:[0,1]
	v_pk_add_f32 v[2:3], v[10:11], v[22:23] neg_lo:[0,1] neg_hi:[0,1]
	v_mov_b32_e32 v6, v34
	v_mov_b32_e32 v7, v27
	;; [unrolled: 1-line block ×6, first 2 shown]
	v_pk_fma_f32 v[6:7], v[0:1], s[4:5], v[6:7] op_sel_hi:[1,0,1] neg_lo:[1,0,1] neg_hi:[1,0,1]
	v_pk_fma_f32 v[8:9], v[2:3], s[2:3], v[8:9] op_sel_hi:[1,0,1] neg_lo:[1,0,1] neg_hi:[1,0,1]
	;; [unrolled: 1-line block ×4, first 2 shown]
	v_pk_add_f32 v[6:7], v[6:7], v[14:15]
	v_pk_fma_f32 v[8:9], v[16:17], s[0:1], v[8:9] op_sel_hi:[1,0,1]
	v_pk_add_f32 v[0:1], v[0:1], v[14:15]
	v_pk_fma_f32 v[2:3], v[16:17], s[0:1], v[2:3] op_sel_hi:[1,0,1]
	v_pk_add_f32 v[10:11], v[6:7], v[8:9] neg_lo:[0,1] neg_hi:[0,1]
	v_pk_add_f32 v[6:7], v[6:7], v[8:9]
	v_pk_add_f32 v[12:13], v[0:1], v[2:3]
	v_pk_add_f32 v[0:1], v[0:1], v[2:3] neg_lo:[0,1] neg_hi:[0,1]
	v_mov_b32_e32 v8, v6
	v_mov_b32_e32 v9, v11
	;; [unrolled: 1-line block ×4, first 2 shown]
	v_add_u32_e32 v0, 0x7000, v19
	ds_write2_b64 v0, v[8:9], v[2:3] offset1:224
	v_mov_b32_e32 v13, v1
	v_mov_b32_e32 v11, v7
	v_add_u32_e32 v0, 0x7e00, v19
	v_mov_b32_e32 v83, v5
	ds_write2_b64 v0, v[12:13], v[10:11] offset1:224
	ds_write_b64 v19, v[82:83] offset:35840
	s_waitcnt lgkmcnt(0)
	s_barrier
	ds_read2_b64 v[0:3], v98 offset1:224
	ds_read2_b64 v[4:7], v104 offset1:224
	;; [unrolled: 1-line block ×3, first 2 shown]
	v_mad_u64_u32 v[20:21], s[0:1], s10, v132, 0
	s_mov_b32 s0, 0x3f5db3d7
	s_waitcnt lgkmcnt(2)
	v_pk_mul_f32 v[12:13], v[48:49], v[0:1]
	v_mov_b32_e32 v22, v21
	v_pk_fma_f32 v[14:15], v[180:181], v[0:1], v[12:13] op_sel:[0,0,1] op_sel_hi:[1,1,0]
	v_pk_fma_f32 v[0:1], v[180:181], v[0:1], v[12:13] op_sel:[0,0,1] op_sel_hi:[1,1,0] neg_lo:[0,0,1] neg_hi:[0,0,1]
	s_mul_hi_u32 s5, s8, 0xfffff0cc
	v_mov_b32_e32 v15, v1
	s_waitcnt lgkmcnt(0)
	v_pk_mul_f32 v[0:1], v[50:51], v[10:11]
	s_mul_i32 s4, s9, 0xfffff0cc
	v_pk_fma_f32 v[16:17], v[178:179], v[10:11], v[0:1] op_sel:[0,0,1] op_sel_hi:[1,1,0]
	v_pk_fma_f32 v[0:1], v[178:179], v[10:11], v[0:1] op_sel:[0,0,1] op_sel_hi:[1,1,0] neg_lo:[0,0,1] neg_hi:[0,0,1]
	ds_read2_b64 v[10:13], v95 offset1:224
	v_mov_b32_e32 v17, v1
	v_pk_add_f32 v[0:1], v[14:15], v[16:17]
	v_pk_add_f32 v[18:19], v[14:15], v[16:17] neg_lo:[0,1] neg_hi:[0,1]
	v_pk_fma_f32 v[0:1], v[0:1], 0.5, v[6:7] op_sel_hi:[1,0,1] neg_lo:[1,0,0] neg_hi:[1,0,0]
	v_pk_mul_f32 v[18:19], v[18:19], s[0:1] op_sel_hi:[1,0]
	s_sub_i32 s5, s5, s8
	v_pk_add_f32 v[24:25], v[0:1], v[18:19] op_sel:[0,1] op_sel_hi:[1,0] neg_lo:[0,1] neg_hi:[0,1]
	v_pk_add_f32 v[26:27], v[0:1], v[18:19] op_sel:[0,1] op_sel_hi:[1,0]
	s_waitcnt lgkmcnt(0)
	v_pk_mul_f32 v[0:1], v[44:45], v[12:13]
	s_add_i32 s5, s5, s4
	v_pk_fma_f32 v[28:29], v[184:185], v[12:13], v[0:1] op_sel:[0,0,1] op_sel_hi:[1,1,0]
	v_pk_fma_f32 v[0:1], v[184:185], v[12:13], v[0:1] op_sel:[0,0,1] op_sel_hi:[1,1,0] neg_lo:[0,0,1] neg_hi:[0,0,1]
	s_mul_i32 s4, s8, 0xfffff0cc
	v_mov_b32_e32 v29, v1
	v_pk_mul_f32 v[0:1], v[46:47], v[8:9]
	s_movk_i32 s10, 0x7000
	v_pk_fma_f32 v[30:31], v[182:183], v[8:9], v[0:1] op_sel:[0,0,1] op_sel_hi:[1,1,0]
	v_pk_fma_f32 v[0:1], v[182:183], v[8:9], v[0:1] op_sel:[0,0,1] op_sel_hi:[1,1,0] neg_lo:[0,0,1] neg_hi:[0,0,1]
	s_nop 0
	v_mov_b32_e32 v31, v1
	v_pk_add_f32 v[0:1], v[4:5], v[28:29]
	s_nop 0
	v_pk_add_f32 v[32:33], v[0:1], v[30:31]
	v_pk_add_f32 v[0:1], v[6:7], v[14:15]
	s_nop 0
	v_pk_add_f32 v[34:35], v[0:1], v[16:17]
	v_mov_b32_e32 v0, v26
	v_mov_b32_e32 v1, v25
	ds_write_b64 v104, v[0:1] offset:26880
	ds_read2_b64 v[6:9], v91 offset1:224
	ds_read2_b64 v[12:15], v96 offset1:224
	v_pk_mul_f32 v[0:1], v[64:65], v[2:3]
	v_mov_b32_e32 v25, v27
	v_pk_fma_f32 v[36:37], v[176:177], v[2:3], v[0:1] op_sel:[0,0,1] op_sel_hi:[1,1,0]
	v_pk_fma_f32 v[0:1], v[176:177], v[2:3], v[0:1] op_sel:[0,0,1] op_sel_hi:[1,1,0] neg_lo:[0,0,1] neg_hi:[0,0,1]
	s_waitcnt lgkmcnt(0)
	v_pk_mul_f32 v[16:17], v[66:67], v[12:13]
	v_mov_b32_e32 v37, v1
	ds_read2_b64 v[0:3], v94 offset1:224
	v_pk_fma_f32 v[38:39], v[174:175], v[12:13], v[16:17] op_sel:[0,0,1] op_sel_hi:[1,1,0]
	v_pk_fma_f32 v[12:13], v[174:175], v[12:13], v[16:17] op_sel:[0,0,1] op_sel_hi:[1,1,0] neg_lo:[0,0,1] neg_hi:[0,0,1]
	s_waitcnt lgkmcnt(0)
	v_pk_mul_f32 v[46:47], v[60:61], v[2:3]
	v_mov_b32_e32 v39, v13
	v_pk_add_f32 v[12:13], v[6:7], v[36:37]
	v_pk_fma_f32 v[48:49], v[168:169], v[2:3], v[46:47] op_sel:[0,0,1] op_sel_hi:[1,1,0]
	v_pk_add_f32 v[44:45], v[12:13], v[38:39]
	v_pk_mul_f32 v[12:13], v[40:41], v[0:1]
	v_pk_fma_f32 v[2:3], v[168:169], v[2:3], v[46:47] op_sel:[0,0,1] op_sel_hi:[1,1,0] neg_lo:[0,0,1] neg_hi:[0,0,1]
	v_pk_fma_f32 v[40:41], v[172:173], v[0:1], v[12:13] op_sel:[0,0,1] op_sel_hi:[1,1,0]
	v_pk_fma_f32 v[0:1], v[172:173], v[0:1], v[12:13] op_sel:[0,0,1] op_sel_hi:[1,1,0] neg_lo:[0,0,1] neg_hi:[0,0,1]
	v_mov_b32_e32 v49, v3
	v_mov_b32_e32 v41, v1
	v_pk_mul_f32 v[0:1], v[42:43], v[14:15]
	s_nop 0
	v_pk_fma_f32 v[42:43], v[170:171], v[14:15], v[0:1] op_sel:[0,0,1] op_sel_hi:[1,1,0]
	v_pk_fma_f32 v[0:1], v[170:171], v[14:15], v[0:1] op_sel:[0,0,1] op_sel_hi:[1,1,0] neg_lo:[0,0,1] neg_hi:[0,0,1]
	ds_read2_b64 v[12:15], v90 offset1:224
	ds_read2_b64 v[16:19], v93 offset1:224
	v_mov_b32_e32 v43, v1
	v_pk_add_f32 v[0:1], v[8:9], v[40:41]
	v_pk_add_f32 v[2:3], v[40:41], v[42:43] neg_lo:[0,1] neg_hi:[0,1]
	v_pk_add_f32 v[0:1], v[0:1], v[42:43]
	ds_write2_b64 v104, v[32:33], v[34:35] offset1:224
	ds_write2_b64 v91, v[44:45], v[0:1] offset1:224
	v_pk_add_f32 v[0:1], v[40:41], v[42:43]
	v_pk_mul_f32 v[2:3], v[2:3], s[0:1] op_sel_hi:[1,0]
	v_pk_fma_f32 v[0:1], v[0:1], 0.5, v[8:9] op_sel_hi:[1,0,1] neg_lo:[1,0,0] neg_hi:[1,0,0]
	s_waitcnt lgkmcnt(2)
	v_pk_mul_f32 v[46:47], v[62:63], v[16:17]
	v_pk_add_f32 v[8:9], v[0:1], v[2:3] op_sel:[0,1] op_sel_hi:[1,0] neg_lo:[0,1] neg_hi:[0,1]
	v_pk_add_f32 v[0:1], v[0:1], v[2:3] op_sel:[0,1] op_sel_hi:[1,0]
	v_mov_b32_e32 v2, v8
	v_mov_b32_e32 v3, v1
	;; [unrolled: 1-line block ×3, first 2 shown]
	ds_write_b64 v104, v[2:3] offset:17920
	ds_write_b64 v104, v[0:1] offset:30464
	ds_read2_b64 v[0:3], v92 offset1:224
	v_pk_fma_f32 v[50:51], v[166:167], v[16:17], v[46:47] op_sel:[0,0,1] op_sel_hi:[1,1,0]
	v_pk_fma_f32 v[8:9], v[166:167], v[16:17], v[46:47] op_sel:[0,0,1] op_sel_hi:[1,1,0] neg_lo:[0,0,1] neg_hi:[0,0,1]
	s_waitcnt lgkmcnt(0)
	v_pk_mul_f32 v[16:17], v[56:57], v[0:1]
	s_nop 0
	v_pk_fma_f32 v[32:33], v[164:165], v[0:1], v[16:17] op_sel:[0,0,1] op_sel_hi:[1,1,0]
	v_pk_fma_f32 v[0:1], v[164:165], v[0:1], v[16:17] op_sel:[0,0,1] op_sel_hi:[1,1,0] neg_lo:[0,0,1] neg_hi:[0,0,1]
	v_pk_mul_f32 v[34:35], v[52:53], v[2:3]
	v_mov_b32_e32 v33, v1
	v_pk_mul_f32 v[0:1], v[58:59], v[18:19]
	v_pk_fma_f32 v[40:41], v[154:155], v[2:3], v[34:35] op_sel:[0,0,1] op_sel_hi:[1,1,0]
	v_pk_fma_f32 v[16:17], v[156:157], v[18:19], v[0:1] op_sel:[0,0,1] op_sel_hi:[1,1,0]
	v_pk_fma_f32 v[0:1], v[156:157], v[18:19], v[0:1] op_sel:[0,0,1] op_sel_hi:[1,1,0] neg_lo:[0,0,1] neg_hi:[0,0,1]
	ds_read_b64 v[18:19], v104 offset:35840
	v_pk_fma_f32 v[2:3], v[154:155], v[2:3], v[34:35] op_sel:[0,0,1] op_sel_hi:[1,1,0] neg_lo:[0,0,1] neg_hi:[0,0,1]
	v_mov_b32_e32 v51, v9
	v_mov_b32_e32 v41, v3
	v_pk_add_f32 v[8:9], v[12:13], v[48:49]
	s_waitcnt lgkmcnt(0)
	v_pk_mul_f32 v[2:3], v[54:55], v[18:19]
	v_mov_b32_e32 v17, v1
	v_pk_fma_f32 v[34:35], v[152:153], v[18:19], v[2:3] op_sel:[0,0,1] op_sel_hi:[1,1,0]
	v_pk_fma_f32 v[2:3], v[152:153], v[18:19], v[2:3] op_sel:[0,0,1] op_sel_hi:[1,1,0] neg_lo:[0,0,1] neg_hi:[0,0,1]
	v_pk_add_f32 v[18:19], v[28:29], v[30:31]
	v_pk_add_f32 v[0:1], v[14:15], v[32:33]
	v_pk_fma_f32 v[4:5], v[18:19], 0.5, v[4:5] op_sel_hi:[1,0,1] neg_lo:[1,0,0] neg_hi:[1,0,0]
	v_pk_add_f32 v[18:19], v[28:29], v[30:31] neg_lo:[0,1] neg_hi:[0,1]
	v_pk_add_f32 v[0:1], v[0:1], v[16:17]
	v_pk_mul_f32 v[18:19], v[18:19], s[0:1] op_sel_hi:[1,0]
	v_pk_add_f32 v[8:9], v[8:9], v[50:51]
	v_pk_add_f32 v[28:29], v[4:5], v[18:19] op_sel:[0,1] op_sel_hi:[1,0] neg_lo:[0,1] neg_hi:[0,1]
	v_pk_add_f32 v[4:5], v[4:5], v[18:19] op_sel:[0,1] op_sel_hi:[1,0]
	v_mov_b32_e32 v19, v29
	v_mov_b32_e32 v18, v4
	;; [unrolled: 1-line block ×3, first 2 shown]
	v_add_u32_e32 v4, 0x3100, v104
	ds_write_b64 v104, v[18:19] offset:25088
	ds_write2_b64 v4, v[28:29], v[24:25] offset1:224
	v_pk_add_f32 v[4:5], v[36:37], v[38:39]
	v_mov_b32_e32 v35, v3
	v_pk_fma_f32 v[4:5], v[4:5], 0.5, v[6:7] op_sel_hi:[1,0,1] neg_lo:[1,0,0] neg_hi:[1,0,0]
	v_pk_add_f32 v[6:7], v[36:37], v[38:39] neg_lo:[0,1] neg_hi:[0,1]
	v_pk_add_f32 v[2:3], v[10:11], v[40:41]
	v_pk_mul_f32 v[6:7], v[6:7], s[0:1] op_sel_hi:[1,0]
	v_pk_add_f32 v[2:3], v[2:3], v[34:35]
	v_pk_add_f32 v[18:19], v[4:5], v[6:7] op_sel:[0,1] op_sel_hi:[1,0] neg_lo:[0,1] neg_hi:[0,1]
	v_pk_add_f32 v[4:5], v[4:5], v[6:7] op_sel:[0,1] op_sel_hi:[1,0]
	v_mov_b32_e32 v7, v19
	v_mov_b32_e32 v6, v4
	ds_write_b64 v104, v[6:7] offset:28672
	v_mov_b32_e32 v19, v5
	v_pk_add_f32 v[4:5], v[48:49], v[50:51]
	v_pk_add_f32 v[6:7], v[48:49], v[50:51] neg_lo:[0,1] neg_hi:[0,1]
	v_pk_fma_f32 v[4:5], v[4:5], 0.5, v[12:13] op_sel_hi:[1,0,1] neg_lo:[1,0,0] neg_hi:[1,0,0]
	v_pk_mul_f32 v[6:7], v[6:7], s[0:1] op_sel_hi:[1,0]
	ds_write_b64 v104, v[18:19] offset:16128
	v_pk_add_f32 v[12:13], v[4:5], v[6:7] op_sel:[0,1] op_sel_hi:[1,0] neg_lo:[0,1] neg_hi:[0,1]
	v_pk_add_f32 v[4:5], v[4:5], v[6:7] op_sel:[0,1] op_sel_hi:[1,0]
	v_mov_b32_e32 v6, v12
	v_mov_b32_e32 v7, v5
	;; [unrolled: 1-line block ×3, first 2 shown]
	ds_write_b64 v104, v[4:5] offset:32256
	ds_write2_b64 v90, v[8:9], v[0:1] offset1:224
	v_pk_add_f32 v[0:1], v[32:33], v[16:17]
	v_pk_add_f32 v[4:5], v[32:33], v[16:17] neg_lo:[0,1] neg_hi:[0,1]
	v_pk_fma_f32 v[0:1], v[0:1], 0.5, v[14:15] op_sel_hi:[1,0,1] neg_lo:[1,0,0] neg_hi:[1,0,0]
	v_pk_mul_f32 v[4:5], v[4:5], s[0:1] op_sel_hi:[1,0]
	s_nop 0
	v_pk_add_f32 v[8:9], v[0:1], v[4:5] op_sel:[0,1] op_sel_hi:[1,0] neg_lo:[0,1] neg_hi:[0,1]
	v_pk_add_f32 v[0:1], v[0:1], v[4:5] op_sel:[0,1] op_sel_hi:[1,0]
	v_mov_b32_e32 v4, v8
	v_mov_b32_e32 v5, v1
	v_add_u32_e32 v1, 0x4d00, v104
	ds_write2_b64 v1, v[6:7], v[4:5] offset1:224
	ds_write_b64 v104, v[2:3] offset:10752
	v_pk_add_f32 v[2:3], v[40:41], v[34:35]
	v_pk_add_f32 v[4:5], v[40:41], v[34:35] neg_lo:[0,1] neg_hi:[0,1]
	v_pk_fma_f32 v[2:3], v[2:3], 0.5, v[10:11] op_sel_hi:[1,0,1] neg_lo:[1,0,0] neg_hi:[1,0,0]
	v_pk_mul_f32 v[4:5], v[4:5], s[0:1] op_sel_hi:[1,0]
	v_mov_b32_e32 v1, v9
	v_pk_add_f32 v[6:7], v[2:3], v[4:5] op_sel:[0,1] op_sel_hi:[1,0] neg_lo:[0,1] neg_hi:[0,1]
	v_pk_add_f32 v[2:3], v[2:3], v[4:5] op_sel:[0,1] op_sel_hi:[1,0]
	v_mov_b32_e32 v4, v6
	v_mov_b32_e32 v5, v3
	ds_write_b64 v104, v[4:5] offset:23296
	v_mov_b32_e32 v3, v7
	v_add_u32_e32 v4, 0x8500, v104
	ds_write2_b64 v4, v[0:1], v[2:3] offset1:224
	s_waitcnt lgkmcnt(0)
	s_barrier
	ds_read2_b64 v[0:3], v104 offset1:224
	v_mad_u64_u32 v[4:5], s[0:1], s11, v132, v[22:23]
	v_mov_b32_e32 v21, v4
	s_mov_b32 s0, 0x899406f7
	s_waitcnt lgkmcnt(0)
	v_mul_f32_e32 v4, v141, v1
	v_fmac_f32_e32 v4, v140, v0
	v_mul_f32_e32 v0, v141, v0
	v_fma_f32 v0, v140, v1, -v0
	s_mov_b32 s1, 0x3f2bdd2b
	v_cvt_f64_f32_e32 v[0:1], v0
	v_cvt_f64_f32_e32 v[4:5], v4
	v_mul_f64 v[0:1], v[0:1], s[0:1]
	v_mul_f64 v[4:5], v[4:5], s[0:1]
	v_cvt_f32_f64_e32 v9, v[0:1]
	v_mad_u64_u32 v[0:1], s[2:3], s8, v122, 0
	v_cvt_f32_f64_e32 v8, v[4:5]
	v_mov_b32_e32 v4, v1
	v_add_u32_e32 v1, 0x1200, v104
	v_mad_u64_u32 v[10:11], s[2:3], s9, v122, v[4:5]
	ds_read2_b64 v[4:7], v1 offset0:12 offset1:236
	v_mov_b32_e32 v1, v10
	v_lshl_add_u64 v[10:11], v[20:21], 3, v[80:81]
	v_lshl_add_u64 v[0:1], v[0:1], 3, v[10:11]
	global_store_dwordx2 v[0:1], v[8:9], off
	s_waitcnt lgkmcnt(0)
	v_mul_f32_e32 v8, v139, v5
	v_fmac_f32_e32 v8, v138, v4
	v_mul_f32_e32 v4, v139, v4
	v_fma_f32 v4, v138, v5, -v4
	v_cvt_f64_f32_e32 v[4:5], v4
	v_cvt_f64_f32_e32 v[8:9], v8
	v_mul_f64 v[4:5], v[4:5], s[0:1]
	v_mul_f64 v[8:9], v[8:9], s[0:1]
	v_cvt_f32_f64_e32 v13, v[4:5]
	v_add_u32_e32 v4, 0x2400, v104
	v_cvt_f32_f64_e32 v12, v[8:9]
	ds_read2_b64 v[8:11], v4 offset0:24 offset1:248
	s_mul_i32 s2, s9, 0x24c
	s_mul_hi_u32 s3, s8, 0x24c
	s_add_i32 s3, s3, s2
	s_mul_i32 s2, s8, 0x24c
	s_waitcnt lgkmcnt(0)
	v_mul_f32_e32 v4, v137, v9
	v_fmac_f32_e32 v4, v136, v8
	v_cvt_f64_f32_e32 v[4:5], v4
	v_mul_f64 v[4:5], v[4:5], s[0:1]
	v_cvt_f32_f64_e32 v4, v[4:5]
	v_mul_f32_e32 v5, v137, v8
	s_lshl_b64 s[2:3], s[2:3], 3
	v_fma_f32 v5, v136, v9, -v5
	v_lshl_add_u64 v[0:1], v[0:1], 0, s[2:3]
	v_cvt_f64_f32_e32 v[8:9], v5
	v_add_u32_e32 v5, 0x3700, v104
	global_store_dwordx2 v[0:1], v[12:13], off
	ds_read2_b64 v[12:15], v5 offset0:4 offset1:228
	v_mul_f64 v[8:9], v[8:9], s[0:1]
	v_cvt_f32_f64_e32 v5, v[8:9]
	v_lshl_add_u64 v[0:1], v[0:1], 0, s[2:3]
	global_store_dwordx2 v[0:1], v[4:5], off
	s_waitcnt lgkmcnt(0)
	v_mul_f32_e32 v4, v135, v13
	v_fmac_f32_e32 v4, v134, v12
	v_cvt_f64_f32_e32 v[4:5], v4
	v_mul_f64 v[4:5], v[4:5], s[0:1]
	v_cvt_f32_f64_e32 v4, v[4:5]
	v_mul_f32_e32 v5, v135, v12
	v_fma_f32 v5, v134, v13, -v5
	v_cvt_f64_f32_e32 v[8:9], v5
	v_add_u32_e32 v5, 0x4900, v104
	ds_read2_b64 v[16:19], v5 offset0:16 offset1:240
	v_mul_f64 v[8:9], v[8:9], s[0:1]
	v_cvt_f32_f64_e32 v5, v[8:9]
	v_lshl_add_u64 v[0:1], v[0:1], 0, s[2:3]
	global_store_dwordx2 v[0:1], v[4:5], off
	s_waitcnt lgkmcnt(0)
	v_mul_f32_e32 v4, v131, v17
	v_fmac_f32_e32 v4, v130, v16
	v_cvt_f64_f32_e32 v[4:5], v4
	v_mul_f64 v[4:5], v[4:5], s[0:1]
	v_cvt_f32_f64_e32 v4, v[4:5]
	v_mul_f32_e32 v5, v131, v16
	v_fma_f32 v5, v130, v17, -v5
	v_cvt_f64_f32_e32 v[8:9], v5
	v_add_u32_e32 v5, 0x5b00, v104
	;; [unrolled: 15-line block ×4, first 2 shown]
	ds_read2_b64 v[28:31], v5 offset0:20 offset1:244
	v_mul_f64 v[8:9], v[8:9], s[0:1]
	v_cvt_f32_f64_e32 v5, v[8:9]
	v_lshl_add_u64 v[0:1], v[0:1], 0, s[2:3]
	global_store_dwordx2 v[0:1], v[4:5], off
	s_waitcnt lgkmcnt(0)
	v_mul_f32_e32 v4, v121, v29
	v_fmac_f32_e32 v4, v120, v28
	v_cvt_f64_f32_e32 v[4:5], v4
	v_mul_f64 v[4:5], v[4:5], s[0:1]
	v_cvt_f32_f64_e32 v4, v[4:5]
	v_mul_f32_e32 v5, v121, v28
	v_fma_f32 v5, v120, v29, -v5
	v_cvt_f64_f32_e32 v[8:9], v5
	v_mul_f64 v[8:9], v[8:9], s[0:1]
	v_cvt_f32_f64_e32 v5, v[8:9]
	v_lshl_add_u64 v[0:1], v[0:1], 0, s[2:3]
	global_store_dwordx2 v[0:1], v[4:5], off
	v_mul_f32_e32 v4, v125, v3
	v_fmac_f32_e32 v4, v124, v2
	v_mul_f32_e32 v2, v125, v2
	v_fma_f32 v2, v124, v3, -v2
	v_cvt_f64_f32_e32 v[4:5], v4
	v_cvt_f64_f32_e32 v[2:3], v2
	v_mul_f64 v[4:5], v[4:5], s[0:1]
	v_mul_f64 v[2:3], v[2:3], s[0:1]
	v_cvt_f32_f64_e32 v4, v[4:5]
	v_cvt_f32_f64_e32 v5, v[2:3]
	v_mul_f32_e32 v2, v119, v7
	v_fmac_f32_e32 v2, v118, v6
	v_cvt_f64_f32_e32 v[2:3], v2
	v_mul_f64 v[2:3], v[2:3], s[0:1]
	v_cvt_f32_f64_e32 v2, v[2:3]
	v_mul_f32_e32 v3, v119, v6
	v_lshl_add_u64 v[0:1], s[4:5], 3, v[0:1]
	v_fma_f32 v3, v118, v7, -v3
	global_store_dwordx2 v[0:1], v[4:5], off
	v_cvt_f64_f32_e32 v[4:5], v3
	v_mul_f64 v[4:5], v[4:5], s[0:1]
	v_cvt_f32_f64_e32 v3, v[4:5]
	v_lshl_add_u64 v[0:1], v[0:1], 0, s[2:3]
	global_store_dwordx2 v[0:1], v[2:3], off
	v_mul_f32_e32 v2, v117, v11
	v_fmac_f32_e32 v2, v116, v10
	v_cvt_f64_f32_e32 v[2:3], v2
	v_mul_f64 v[2:3], v[2:3], s[0:1]
	v_cvt_f32_f64_e32 v2, v[2:3]
	v_mul_f32_e32 v3, v117, v10
	v_fma_f32 v3, v116, v11, -v3
	v_cvt_f64_f32_e32 v[4:5], v3
	v_mul_f64 v[4:5], v[4:5], s[0:1]
	v_cvt_f32_f64_e32 v3, v[4:5]
	v_lshl_add_u64 v[0:1], v[0:1], 0, s[2:3]
	global_store_dwordx2 v[0:1], v[2:3], off
	v_mul_f32_e32 v2, v115, v15
	v_fmac_f32_e32 v2, v114, v14
	v_cvt_f64_f32_e32 v[2:3], v2
	v_mul_f64 v[2:3], v[2:3], s[0:1]
	v_cvt_f32_f64_e32 v2, v[2:3]
	v_mul_f32_e32 v3, v115, v14
	v_fma_f32 v3, v114, v15, -v3
	;; [unrolled: 12-line block ×6, first 2 shown]
	v_cvt_f64_f32_e32 v[4:5], v3
	v_mul_f64 v[4:5], v[4:5], s[0:1]
	s_mov_b32 s11, 0x8000
	v_cvt_f32_f64_e32 v3, v[4:5]
	v_lshl_add_u64 v[0:1], v[0:1], 0, s[2:3]
	global_store_dwordx2 v[0:1], v[2:3], off
	s_and_b64 exec, exec, s[6:7]
	s_cbranch_execz .LBB0_23
; %bb.22:
	global_load_dwordx2 v[2:3], v[102:103], off offset:3584
	ds_read_b64 v[4:5], v104 offset:8288
	ds_read_b64 v[6:7], v104 offset:12992
	;; [unrolled: 1-line block ×4, first 2 shown]
	v_lshl_add_u64 v[0:1], s[4:5], 3, v[0:1]
	s_movk_i32 s4, 0x2000
	v_add_co_u32_e32 v12, vcc, s4, v102
	s_movk_i32 s4, 0x3000
	s_nop 0
	v_addc_co_u32_e32 v13, vcc, 0, v103, vcc
	s_waitcnt vmcnt(0) lgkmcnt(1)
	v_mul_f32_e32 v14, v9, v3
	v_mul_f32_e32 v3, v8, v3
	v_fmac_f32_e32 v14, v8, v2
	v_fma_f32 v8, v2, v9, -v3
	v_cvt_f64_f32_e32 v[2:3], v14
	v_cvt_f64_f32_e32 v[8:9], v8
	v_mul_f64 v[2:3], v[2:3], s[0:1]
	v_mul_f64 v[8:9], v[8:9], s[0:1]
	v_cvt_f32_f64_e32 v2, v[2:3]
	v_cvt_f32_f64_e32 v3, v[8:9]
	global_store_dwordx2 v[0:1], v[2:3], off
	global_load_dwordx2 v[2:3], v[12:13], off offset:96
	v_lshl_add_u64 v[0:1], v[0:1], 0, s[2:3]
	v_add_co_u32_e32 v8, vcc, s4, v102
	s_movk_i32 s4, 0x4000
	s_nop 0
	v_addc_co_u32_e32 v9, vcc, 0, v103, vcc
	s_waitcnt vmcnt(0)
	v_mul_f32_e32 v12, v5, v3
	v_mul_f32_e32 v3, v4, v3
	v_fmac_f32_e32 v12, v4, v2
	v_fma_f32 v4, v2, v5, -v3
	v_cvt_f64_f32_e32 v[2:3], v12
	v_cvt_f64_f32_e32 v[4:5], v4
	v_mul_f64 v[2:3], v[2:3], s[0:1]
	v_mul_f64 v[4:5], v[4:5], s[0:1]
	v_cvt_f32_f64_e32 v2, v[2:3]
	v_cvt_f32_f64_e32 v3, v[4:5]
	global_store_dwordx2 v[0:1], v[2:3], off
	global_load_dwordx2 v[2:3], v[8:9], off offset:704
	v_add_co_u32_e32 v4, vcc, s4, v102
	v_lshl_add_u64 v[0:1], v[0:1], 0, s[2:3]
	s_nop 0
	v_addc_co_u32_e32 v5, vcc, 0, v103, vcc
	s_movk_i32 s4, 0x5000
	v_add_co_u32_e32 v14, vcc, s4, v102
	s_movk_i32 s4, 0x6000
	s_nop 0
	v_addc_co_u32_e32 v15, vcc, 0, v103, vcc
	s_waitcnt vmcnt(0)
	v_mul_f32_e32 v8, v7, v3
	v_mul_f32_e32 v3, v6, v3
	v_fmac_f32_e32 v8, v6, v2
	v_fma_f32 v6, v2, v7, -v3
	v_cvt_f64_f32_e32 v[2:3], v8
	v_cvt_f64_f32_e32 v[6:7], v6
	v_mul_f64 v[2:3], v[2:3], s[0:1]
	v_mul_f64 v[6:7], v[6:7], s[0:1]
	v_cvt_f32_f64_e32 v2, v[2:3]
	v_cvt_f32_f64_e32 v3, v[6:7]
	global_store_dwordx2 v[0:1], v[2:3], off
	global_load_dwordx2 v[2:3], v[4:5], off offset:1312
	ds_read_b64 v[4:5], v104 offset:17696
	ds_read_b64 v[6:7], v104 offset:22400
	;; [unrolled: 1-line block ×4, first 2 shown]
	v_lshl_add_u64 v[0:1], v[0:1], 0, s[2:3]
	s_waitcnt vmcnt(0) lgkmcnt(3)
	v_mul_f32_e32 v16, v5, v3
	v_mul_f32_e32 v3, v4, v3
	v_fmac_f32_e32 v16, v4, v2
	v_fma_f32 v4, v2, v5, -v3
	v_cvt_f64_f32_e32 v[2:3], v16
	v_cvt_f64_f32_e32 v[4:5], v4
	v_mul_f64 v[2:3], v[2:3], s[0:1]
	v_mul_f64 v[4:5], v[4:5], s[0:1]
	v_cvt_f32_f64_e32 v2, v[2:3]
	v_cvt_f32_f64_e32 v3, v[4:5]
	global_store_dwordx2 v[0:1], v[2:3], off
	global_load_dwordx2 v[2:3], v[14:15], off offset:1920
	v_add_co_u32_e32 v4, vcc, s4, v102
	v_lshl_add_u64 v[0:1], v[0:1], 0, s[2:3]
	s_nop 0
	v_addc_co_u32_e32 v5, vcc, 0, v103, vcc
	s_waitcnt vmcnt(0) lgkmcnt(2)
	v_mul_f32_e32 v14, v7, v3
	v_mul_f32_e32 v3, v6, v3
	v_fmac_f32_e32 v14, v6, v2
	v_fma_f32 v6, v2, v7, -v3
	v_cvt_f64_f32_e32 v[2:3], v14
	v_cvt_f64_f32_e32 v[6:7], v6
	v_mul_f64 v[2:3], v[2:3], s[0:1]
	v_mul_f64 v[6:7], v[6:7], s[0:1]
	v_cvt_f32_f64_e32 v2, v[2:3]
	v_cvt_f32_f64_e32 v3, v[6:7]
	global_store_dwordx2 v[0:1], v[2:3], off
	global_load_dwordx2 v[2:3], v[4:5], off offset:2528
	v_add_co_u32_e32 v4, vcc, s10, v102
	v_lshl_add_u64 v[0:1], v[0:1], 0, s[2:3]
	s_nop 0
	v_addc_co_u32_e32 v5, vcc, 0, v103, vcc
	s_waitcnt vmcnt(0) lgkmcnt(1)
	v_mul_f32_e32 v6, v9, v3
	v_mul_f32_e32 v3, v8, v3
	v_fmac_f32_e32 v6, v8, v2
	v_fma_f32 v7, v2, v9, -v3
	v_cvt_f64_f32_e32 v[2:3], v6
	v_cvt_f64_f32_e32 v[6:7], v7
	v_mul_f64 v[2:3], v[2:3], s[0:1]
	v_mul_f64 v[6:7], v[6:7], s[0:1]
	v_cvt_f32_f64_e32 v2, v[2:3]
	v_cvt_f32_f64_e32 v3, v[6:7]
	global_store_dwordx2 v[0:1], v[2:3], off
	global_load_dwordx2 v[2:3], v[4:5], off offset:3136
	v_add_co_u32_e32 v4, vcc, s11, v102
	v_lshl_add_u64 v[0:1], v[0:1], 0, s[2:3]
	s_nop 0
	v_addc_co_u32_e32 v5, vcc, 0, v103, vcc
	s_waitcnt vmcnt(0) lgkmcnt(0)
	v_mul_f32_e32 v6, v13, v3
	v_mul_f32_e32 v3, v12, v3
	v_fmac_f32_e32 v6, v12, v2
	v_fma_f32 v7, v2, v13, -v3
	v_cvt_f64_f32_e32 v[2:3], v6
	v_cvt_f64_f32_e32 v[6:7], v7
	v_mul_f64 v[2:3], v[2:3], s[0:1]
	v_mul_f64 v[6:7], v[6:7], s[0:1]
	v_cvt_f32_f64_e32 v2, v[2:3]
	v_cvt_f32_f64_e32 v3, v[6:7]
	global_store_dwordx2 v[0:1], v[2:3], off
	global_load_dwordx2 v[2:3], v[4:5], off offset:3744
	v_lshl_add_u64 v[0:1], v[0:1], 0, s[2:3]
	s_waitcnt vmcnt(0)
	v_mul_f32_e32 v4, v11, v3
	v_mul_f32_e32 v3, v10, v3
	v_fmac_f32_e32 v4, v10, v2
	v_fma_f32 v5, v2, v11, -v3
	v_cvt_f64_f32_e32 v[2:3], v4
	v_cvt_f64_f32_e32 v[4:5], v5
	v_mul_f64 v[2:3], v[2:3], s[0:1]
	v_mul_f64 v[4:5], v[4:5], s[0:1]
	v_cvt_f32_f64_e32 v2, v[2:3]
	v_cvt_f32_f64_e32 v3, v[4:5]
	global_store_dwordx2 v[0:1], v[2:3], off
.LBB0_23:
	s_endpgm
	.section	.rodata,"a",@progbits
	.p2align	6, 0x0
	.amdhsa_kernel bluestein_single_back_len4704_dim1_sp_op_CI_CI
		.amdhsa_group_segment_fixed_size 37632
		.amdhsa_private_segment_fixed_size 0
		.amdhsa_kernarg_size 104
		.amdhsa_user_sgpr_count 2
		.amdhsa_user_sgpr_dispatch_ptr 0
		.amdhsa_user_sgpr_queue_ptr 0
		.amdhsa_user_sgpr_kernarg_segment_ptr 1
		.amdhsa_user_sgpr_dispatch_id 0
		.amdhsa_user_sgpr_kernarg_preload_length 0
		.amdhsa_user_sgpr_kernarg_preload_offset 0
		.amdhsa_user_sgpr_private_segment_size 0
		.amdhsa_uses_dynamic_stack 0
		.amdhsa_enable_private_segment 0
		.amdhsa_system_sgpr_workgroup_id_x 1
		.amdhsa_system_sgpr_workgroup_id_y 0
		.amdhsa_system_sgpr_workgroup_id_z 0
		.amdhsa_system_sgpr_workgroup_info 0
		.amdhsa_system_vgpr_workitem_id 0
		.amdhsa_next_free_vgpr 234
		.amdhsa_next_free_sgpr 32
		.amdhsa_accum_offset 236
		.amdhsa_reserve_vcc 1
		.amdhsa_float_round_mode_32 0
		.amdhsa_float_round_mode_16_64 0
		.amdhsa_float_denorm_mode_32 3
		.amdhsa_float_denorm_mode_16_64 3
		.amdhsa_dx10_clamp 1
		.amdhsa_ieee_mode 1
		.amdhsa_fp16_overflow 0
		.amdhsa_tg_split 0
		.amdhsa_exception_fp_ieee_invalid_op 0
		.amdhsa_exception_fp_denorm_src 0
		.amdhsa_exception_fp_ieee_div_zero 0
		.amdhsa_exception_fp_ieee_overflow 0
		.amdhsa_exception_fp_ieee_underflow 0
		.amdhsa_exception_fp_ieee_inexact 0
		.amdhsa_exception_int_div_zero 0
	.end_amdhsa_kernel
	.text
.Lfunc_end0:
	.size	bluestein_single_back_len4704_dim1_sp_op_CI_CI, .Lfunc_end0-bluestein_single_back_len4704_dim1_sp_op_CI_CI
                                        ; -- End function
	.section	.AMDGPU.csdata,"",@progbits
; Kernel info:
; codeLenInByte = 23520
; NumSgprs: 38
; NumVgprs: 234
; NumAgprs: 0
; TotalNumVgprs: 234
; ScratchSize: 0
; MemoryBound: 0
; FloatMode: 240
; IeeeMode: 1
; LDSByteSize: 37632 bytes/workgroup (compile time only)
; SGPRBlocks: 4
; VGPRBlocks: 29
; NumSGPRsForWavesPerEU: 38
; NumVGPRsForWavesPerEU: 234
; AccumOffset: 236
; Occupancy: 2
; WaveLimiterHint : 1
; COMPUTE_PGM_RSRC2:SCRATCH_EN: 0
; COMPUTE_PGM_RSRC2:USER_SGPR: 2
; COMPUTE_PGM_RSRC2:TRAP_HANDLER: 0
; COMPUTE_PGM_RSRC2:TGID_X_EN: 1
; COMPUTE_PGM_RSRC2:TGID_Y_EN: 0
; COMPUTE_PGM_RSRC2:TGID_Z_EN: 0
; COMPUTE_PGM_RSRC2:TIDIG_COMP_CNT: 0
; COMPUTE_PGM_RSRC3_GFX90A:ACCUM_OFFSET: 58
; COMPUTE_PGM_RSRC3_GFX90A:TG_SPLIT: 0
	.text
	.p2alignl 6, 3212836864
	.fill 256, 4, 3212836864
	.type	__hip_cuid_91f4242c6b8a603f,@object ; @__hip_cuid_91f4242c6b8a603f
	.section	.bss,"aw",@nobits
	.globl	__hip_cuid_91f4242c6b8a603f
__hip_cuid_91f4242c6b8a603f:
	.byte	0                               ; 0x0
	.size	__hip_cuid_91f4242c6b8a603f, 1

	.ident	"AMD clang version 19.0.0git (https://github.com/RadeonOpenCompute/llvm-project roc-6.4.0 25133 c7fe45cf4b819c5991fe208aaa96edf142730f1d)"
	.section	".note.GNU-stack","",@progbits
	.addrsig
	.addrsig_sym __hip_cuid_91f4242c6b8a603f
	.amdgpu_metadata
---
amdhsa.kernels:
  - .agpr_count:     0
    .args:
      - .actual_access:  read_only
        .address_space:  global
        .offset:         0
        .size:           8
        .value_kind:     global_buffer
      - .actual_access:  read_only
        .address_space:  global
        .offset:         8
        .size:           8
        .value_kind:     global_buffer
      - .actual_access:  read_only
        .address_space:  global
        .offset:         16
        .size:           8
        .value_kind:     global_buffer
      - .actual_access:  read_only
        .address_space:  global
        .offset:         24
        .size:           8
        .value_kind:     global_buffer
      - .actual_access:  read_only
        .address_space:  global
        .offset:         32
        .size:           8
        .value_kind:     global_buffer
      - .offset:         40
        .size:           8
        .value_kind:     by_value
      - .address_space:  global
        .offset:         48
        .size:           8
        .value_kind:     global_buffer
      - .address_space:  global
        .offset:         56
        .size:           8
        .value_kind:     global_buffer
      - .address_space:  global
        .offset:         64
        .size:           8
        .value_kind:     global_buffer
      - .address_space:  global
        .offset:         72
        .size:           8
        .value_kind:     global_buffer
      - .offset:         80
        .size:           4
        .value_kind:     by_value
      - .address_space:  global
        .offset:         88
        .size:           8
        .value_kind:     global_buffer
      - .address_space:  global
        .offset:         96
        .size:           8
        .value_kind:     global_buffer
    .group_segment_fixed_size: 37632
    .kernarg_segment_align: 8
    .kernarg_segment_size: 104
    .language:       OpenCL C
    .language_version:
      - 2
      - 0
    .max_flat_workgroup_size: 224
    .name:           bluestein_single_back_len4704_dim1_sp_op_CI_CI
    .private_segment_fixed_size: 0
    .sgpr_count:     38
    .sgpr_spill_count: 0
    .symbol:         bluestein_single_back_len4704_dim1_sp_op_CI_CI.kd
    .uniform_work_group_size: 1
    .uses_dynamic_stack: false
    .vgpr_count:     234
    .vgpr_spill_count: 0
    .wavefront_size: 64
amdhsa.target:   amdgcn-amd-amdhsa--gfx950
amdhsa.version:
  - 1
  - 2
...

	.end_amdgpu_metadata
